;; amdgpu-corpus repo=ROCm/rocFFT kind=compiled arch=gfx1030 opt=O3
	.text
	.amdgcn_target "amdgcn-amd-amdhsa--gfx1030"
	.amdhsa_code_object_version 6
	.protected	fft_rtc_fwd_len714_factors_3_17_7_2_wgs_51_tpt_51_halfLds_half_op_CI_CI_unitstride_sbrr_C2R_dirReg ; -- Begin function fft_rtc_fwd_len714_factors_3_17_7_2_wgs_51_tpt_51_halfLds_half_op_CI_CI_unitstride_sbrr_C2R_dirReg
	.globl	fft_rtc_fwd_len714_factors_3_17_7_2_wgs_51_tpt_51_halfLds_half_op_CI_CI_unitstride_sbrr_C2R_dirReg
	.p2align	8
	.type	fft_rtc_fwd_len714_factors_3_17_7_2_wgs_51_tpt_51_halfLds_half_op_CI_CI_unitstride_sbrr_C2R_dirReg,@function
fft_rtc_fwd_len714_factors_3_17_7_2_wgs_51_tpt_51_halfLds_half_op_CI_CI_unitstride_sbrr_C2R_dirReg: ; @fft_rtc_fwd_len714_factors_3_17_7_2_wgs_51_tpt_51_halfLds_half_op_CI_CI_unitstride_sbrr_C2R_dirReg
; %bb.0:
	s_clause 0x2
	s_load_dwordx4 s[12:15], s[4:5], 0x0
	s_load_dwordx4 s[8:11], s[4:5], 0x58
	;; [unrolled: 1-line block ×3, first 2 shown]
	v_mul_u32_u24_e32 v1, 0x506, v0
	v_mov_b32_e32 v3, 0
	v_mov_b32_e32 v7, 0
	;; [unrolled: 1-line block ×3, first 2 shown]
	v_add_nc_u32_sdwa v9, s6, v1 dst_sel:DWORD dst_unused:UNUSED_PAD src0_sel:DWORD src1_sel:WORD_1
	v_mov_b32_e32 v10, v3
	s_waitcnt lgkmcnt(0)
	v_cmp_lt_u64_e64 s0, s[14:15], 2
	s_and_b32 vcc_lo, exec_lo, s0
	s_cbranch_vccnz .LBB0_8
; %bb.1:
	s_load_dwordx2 s[0:1], s[4:5], 0x10
	v_mov_b32_e32 v7, 0
	v_mov_b32_e32 v8, 0
	s_add_u32 s2, s18, 8
	s_addc_u32 s3, s19, 0
	v_mov_b32_e32 v1, v7
	s_add_u32 s6, s16, 8
	v_mov_b32_e32 v2, v8
	s_addc_u32 s7, s17, 0
	s_mov_b64 s[22:23], 1
	s_waitcnt lgkmcnt(0)
	s_add_u32 s20, s0, 8
	s_addc_u32 s21, s1, 0
.LBB0_2:                                ; =>This Inner Loop Header: Depth=1
	s_load_dwordx2 s[24:25], s[20:21], 0x0
                                        ; implicit-def: $vgpr5_vgpr6
	s_mov_b32 s0, exec_lo
	s_waitcnt lgkmcnt(0)
	v_or_b32_e32 v4, s25, v10
	v_cmpx_ne_u64_e32 0, v[3:4]
	s_xor_b32 s1, exec_lo, s0
	s_cbranch_execz .LBB0_4
; %bb.3:                                ;   in Loop: Header=BB0_2 Depth=1
	v_cvt_f32_u32_e32 v4, s24
	v_cvt_f32_u32_e32 v5, s25
	s_sub_u32 s0, 0, s24
	s_subb_u32 s26, 0, s25
	v_fmac_f32_e32 v4, 0x4f800000, v5
	v_rcp_f32_e32 v4, v4
	v_mul_f32_e32 v4, 0x5f7ffffc, v4
	v_mul_f32_e32 v5, 0x2f800000, v4
	v_trunc_f32_e32 v5, v5
	v_fmac_f32_e32 v4, 0xcf800000, v5
	v_cvt_u32_f32_e32 v5, v5
	v_cvt_u32_f32_e32 v4, v4
	v_mul_lo_u32 v6, s0, v5
	v_mul_hi_u32 v11, s0, v4
	v_mul_lo_u32 v12, s26, v4
	v_add_nc_u32_e32 v6, v11, v6
	v_mul_lo_u32 v11, s0, v4
	v_add_nc_u32_e32 v6, v6, v12
	v_mul_hi_u32 v12, v4, v11
	v_mul_lo_u32 v13, v4, v6
	v_mul_hi_u32 v14, v4, v6
	v_mul_hi_u32 v15, v5, v11
	v_mul_lo_u32 v11, v5, v11
	v_mul_hi_u32 v16, v5, v6
	v_mul_lo_u32 v6, v5, v6
	v_add_co_u32 v12, vcc_lo, v12, v13
	v_add_co_ci_u32_e32 v13, vcc_lo, 0, v14, vcc_lo
	v_add_co_u32 v11, vcc_lo, v12, v11
	v_add_co_ci_u32_e32 v11, vcc_lo, v13, v15, vcc_lo
	v_add_co_ci_u32_e32 v12, vcc_lo, 0, v16, vcc_lo
	v_add_co_u32 v6, vcc_lo, v11, v6
	v_add_co_ci_u32_e32 v11, vcc_lo, 0, v12, vcc_lo
	v_add_co_u32 v4, vcc_lo, v4, v6
	v_add_co_ci_u32_e32 v5, vcc_lo, v5, v11, vcc_lo
	v_mul_hi_u32 v6, s0, v4
	v_mul_lo_u32 v12, s26, v4
	v_mul_lo_u32 v11, s0, v5
	v_add_nc_u32_e32 v6, v6, v11
	v_mul_lo_u32 v11, s0, v4
	v_add_nc_u32_e32 v6, v6, v12
	v_mul_hi_u32 v12, v4, v11
	v_mul_lo_u32 v13, v4, v6
	v_mul_hi_u32 v14, v4, v6
	v_mul_hi_u32 v15, v5, v11
	v_mul_lo_u32 v11, v5, v11
	v_mul_hi_u32 v16, v5, v6
	v_mul_lo_u32 v6, v5, v6
	v_add_co_u32 v12, vcc_lo, v12, v13
	v_add_co_ci_u32_e32 v13, vcc_lo, 0, v14, vcc_lo
	v_add_co_u32 v11, vcc_lo, v12, v11
	v_add_co_ci_u32_e32 v11, vcc_lo, v13, v15, vcc_lo
	v_add_co_ci_u32_e32 v12, vcc_lo, 0, v16, vcc_lo
	v_add_co_u32 v6, vcc_lo, v11, v6
	v_add_co_ci_u32_e32 v11, vcc_lo, 0, v12, vcc_lo
	v_add_co_u32 v6, vcc_lo, v4, v6
	v_add_co_ci_u32_e32 v13, vcc_lo, v5, v11, vcc_lo
	v_mul_hi_u32 v15, v9, v6
	v_mad_u64_u32 v[11:12], null, v10, v6, 0
	v_mad_u64_u32 v[4:5], null, v9, v13, 0
	;; [unrolled: 1-line block ×3, first 2 shown]
	v_add_co_u32 v4, vcc_lo, v15, v4
	v_add_co_ci_u32_e32 v5, vcc_lo, 0, v5, vcc_lo
	v_add_co_u32 v4, vcc_lo, v4, v11
	v_add_co_ci_u32_e32 v4, vcc_lo, v5, v12, vcc_lo
	v_add_co_ci_u32_e32 v5, vcc_lo, 0, v14, vcc_lo
	v_add_co_u32 v11, vcc_lo, v4, v13
	v_add_co_ci_u32_e32 v6, vcc_lo, 0, v5, vcc_lo
	v_mul_lo_u32 v12, s25, v11
	v_mad_u64_u32 v[4:5], null, s24, v11, 0
	v_mul_lo_u32 v13, s24, v6
	v_sub_co_u32 v4, vcc_lo, v9, v4
	v_add3_u32 v5, v5, v13, v12
	v_sub_nc_u32_e32 v12, v10, v5
	v_subrev_co_ci_u32_e64 v12, s0, s25, v12, vcc_lo
	v_add_co_u32 v13, s0, v11, 2
	v_add_co_ci_u32_e64 v14, s0, 0, v6, s0
	v_sub_co_u32 v15, s0, v4, s24
	v_sub_co_ci_u32_e32 v5, vcc_lo, v10, v5, vcc_lo
	v_subrev_co_ci_u32_e64 v12, s0, 0, v12, s0
	v_cmp_le_u32_e32 vcc_lo, s24, v15
	v_cmp_eq_u32_e64 s0, s25, v5
	v_cndmask_b32_e64 v15, 0, -1, vcc_lo
	v_cmp_le_u32_e32 vcc_lo, s25, v12
	v_cndmask_b32_e64 v16, 0, -1, vcc_lo
	v_cmp_le_u32_e32 vcc_lo, s24, v4
	;; [unrolled: 2-line block ×3, first 2 shown]
	v_cndmask_b32_e64 v17, 0, -1, vcc_lo
	v_cmp_eq_u32_e32 vcc_lo, s25, v12
	v_cndmask_b32_e64 v4, v17, v4, s0
	v_cndmask_b32_e32 v12, v16, v15, vcc_lo
	v_add_co_u32 v15, vcc_lo, v11, 1
	v_add_co_ci_u32_e32 v16, vcc_lo, 0, v6, vcc_lo
	v_cmp_ne_u32_e32 vcc_lo, 0, v12
	v_cndmask_b32_e32 v5, v16, v14, vcc_lo
	v_cndmask_b32_e32 v12, v15, v13, vcc_lo
	v_cmp_ne_u32_e32 vcc_lo, 0, v4
	v_cndmask_b32_e32 v6, v6, v5, vcc_lo
	v_cndmask_b32_e32 v5, v11, v12, vcc_lo
.LBB0_4:                                ;   in Loop: Header=BB0_2 Depth=1
	s_andn2_saveexec_b32 s0, s1
	s_cbranch_execz .LBB0_6
; %bb.5:                                ;   in Loop: Header=BB0_2 Depth=1
	v_cvt_f32_u32_e32 v4, s24
	s_sub_i32 s1, 0, s24
	v_rcp_iflag_f32_e32 v4, v4
	v_mul_f32_e32 v4, 0x4f7ffffe, v4
	v_cvt_u32_f32_e32 v4, v4
	v_mul_lo_u32 v5, s1, v4
	v_mul_hi_u32 v5, v4, v5
	v_add_nc_u32_e32 v4, v4, v5
	v_mul_hi_u32 v4, v9, v4
	v_mul_lo_u32 v5, v4, s24
	v_add_nc_u32_e32 v6, 1, v4
	v_sub_nc_u32_e32 v5, v9, v5
	v_subrev_nc_u32_e32 v11, s24, v5
	v_cmp_le_u32_e32 vcc_lo, s24, v5
	v_cndmask_b32_e32 v5, v5, v11, vcc_lo
	v_cndmask_b32_e32 v4, v4, v6, vcc_lo
	v_cmp_le_u32_e32 vcc_lo, s24, v5
	v_add_nc_u32_e32 v6, 1, v4
	v_cndmask_b32_e32 v5, v4, v6, vcc_lo
	v_mov_b32_e32 v6, v3
.LBB0_6:                                ;   in Loop: Header=BB0_2 Depth=1
	s_or_b32 exec_lo, exec_lo, s0
	v_mul_lo_u32 v4, v6, s24
	v_mul_lo_u32 v13, v5, s25
	s_load_dwordx2 s[0:1], s[6:7], 0x0
	v_mad_u64_u32 v[11:12], null, v5, s24, 0
	s_load_dwordx2 s[24:25], s[2:3], 0x0
	s_add_u32 s22, s22, 1
	s_addc_u32 s23, s23, 0
	s_add_u32 s2, s2, 8
	s_addc_u32 s3, s3, 0
	s_add_u32 s6, s6, 8
	v_add3_u32 v4, v12, v13, v4
	v_sub_co_u32 v9, vcc_lo, v9, v11
	s_addc_u32 s7, s7, 0
	s_add_u32 s20, s20, 8
	v_sub_co_ci_u32_e32 v4, vcc_lo, v10, v4, vcc_lo
	s_addc_u32 s21, s21, 0
	s_waitcnt lgkmcnt(0)
	v_mul_lo_u32 v10, s0, v4
	v_mul_lo_u32 v11, s1, v9
	v_mad_u64_u32 v[7:8], null, s0, v9, v[7:8]
	v_mul_lo_u32 v4, s24, v4
	v_mul_lo_u32 v12, s25, v9
	v_mad_u64_u32 v[1:2], null, s24, v9, v[1:2]
	v_cmp_ge_u64_e64 s0, s[22:23], s[14:15]
	v_add3_u32 v8, v11, v8, v10
	v_add3_u32 v2, v12, v2, v4
	s_and_b32 vcc_lo, exec_lo, s0
	s_cbranch_vccnz .LBB0_9
; %bb.7:                                ;   in Loop: Header=BB0_2 Depth=1
	v_mov_b32_e32 v10, v6
	v_mov_b32_e32 v9, v5
	s_branch .LBB0_2
.LBB0_8:
	v_mov_b32_e32 v1, v7
	v_mov_b32_e32 v5, v9
	;; [unrolled: 1-line block ×4, first 2 shown]
.LBB0_9:
	s_load_dwordx2 s[0:1], s[4:5], 0x28
	v_mul_hi_u32 v4, 0x5050506, v0
	s_lshl_b64 s[4:5], s[14:15], 3
                                        ; implicit-def: $vgpr3
                                        ; implicit-def: $vgpr9_vgpr10
	s_add_u32 s2, s18, s4
	s_addc_u32 s3, s19, s5
	s_waitcnt lgkmcnt(0)
	v_cmp_gt_u64_e32 vcc_lo, s[0:1], v[5:6]
	v_cmp_le_u64_e64 s0, s[0:1], v[5:6]
	s_and_saveexec_b32 s1, s0
	s_xor_b32 s0, exec_lo, s1
; %bb.10:
	v_mul_u32_u24_e32 v3, 51, v4
	v_mov_b32_e32 v4, 0
                                        ; implicit-def: $vgpr7_vgpr8
	v_sub_nc_u32_e32 v3, v0, v3
	v_mov_b32_e32 v10, v4
                                        ; implicit-def: $vgpr0
	v_mov_b32_e32 v9, v3
                                        ; implicit-def: $vgpr4
; %bb.11:
	s_or_saveexec_b32 s1, s0
	s_load_dwordx2 s[2:3], s[2:3], 0x0
	s_xor_b32 exec_lo, exec_lo, s1
	s_cbranch_execz .LBB0_15
; %bb.12:
	s_add_u32 s4, s16, s4
	s_addc_u32 s5, s17, s5
	v_lshlrev_b64 v[7:8], 2, v[7:8]
	s_load_dwordx2 s[4:5], s[4:5], 0x0
	s_waitcnt lgkmcnt(0)
	v_mul_lo_u32 v3, s5, v5
	v_mul_lo_u32 v11, s4, v6
	v_mad_u64_u32 v[9:10], null, s4, v5, 0
	s_mov_b32 s4, exec_lo
	v_add3_u32 v10, v10, v11, v3
	v_mul_u32_u24_e32 v3, 51, v4
	v_lshlrev_b64 v[9:10], 2, v[9:10]
	v_sub_nc_u32_e32 v3, v0, v3
	v_lshlrev_b32_e32 v12, 2, v3
	v_add_co_u32 v0, s0, s8, v9
	v_add_co_ci_u32_e64 v4, s0, s9, v10, s0
	v_add_co_u32 v0, s0, v0, v7
	v_add_co_ci_u32_e64 v7, s0, v4, v8, s0
	v_mov_b32_e32 v4, 0
	v_add_co_u32 v8, s0, v0, v12
	v_add_co_ci_u32_e64 v9, s0, 0, v7, s0
	v_add_nc_u32_e32 v12, 0, v12
	v_add_co_u32 v10, s0, 0x800, v8
	v_add_co_ci_u32_e64 v11, s0, 0, v9, s0
	s_clause 0xd
	global_load_dword v13, v[8:9], off
	global_load_dword v14, v[8:9], off offset:204
	global_load_dword v15, v[8:9], off offset:408
	;; [unrolled: 1-line block ×13, first 2 shown]
	v_mov_b32_e32 v10, v4
	v_mov_b32_e32 v9, v3
	v_add_nc_u32_e32 v25, 0x400, v12
	v_add_nc_u32_e32 v26, 0x600, v12
	;; [unrolled: 1-line block ×3, first 2 shown]
	s_waitcnt vmcnt(12)
	ds_write2_b32 v12, v13, v14 offset1:51
	s_waitcnt vmcnt(10)
	ds_write2_b32 v12, v15, v16 offset0:102 offset1:153
	s_waitcnt vmcnt(8)
	ds_write2_b32 v12, v17, v18 offset0:204 offset1:255
	;; [unrolled: 2-line block ×6, first 2 shown]
	v_cmpx_eq_u32_e32 50, v3
	s_cbranch_execz .LBB0_14
; %bb.13:
	v_add_co_u32 v8, s0, 0x800, v0
	v_add_co_ci_u32_e64 v9, s0, 0, v7, s0
	v_mov_b32_e32 v3, 50
	global_load_dword v0, v[8:9], off offset:808
	v_mov_b32_e32 v9, 50
	v_mov_b32_e32 v10, 0
	s_waitcnt vmcnt(0)
	ds_write_b32 v4, v0 offset:2856
.LBB0_14:
	s_or_b32 exec_lo, exec_lo, s4
.LBB0_15:
	s_or_b32 exec_lo, exec_lo, s1
	v_lshlrev_b32_e32 v4, 2, v3
	s_waitcnt lgkmcnt(0)
	s_barrier
	buffer_gl0_inv
	v_lshlrev_b64 v[7:8], 2, v[9:10]
	v_add_nc_u32_e32 v0, 0, v4
	v_sub_nc_u32_e32 v11, 0, v4
	s_add_u32 s1, s12, 0xb1c
	s_addc_u32 s4, s13, 0
	s_mov_b32 s5, exec_lo
	ds_read_u16 v4, v0
	ds_read_u16 v14, v11 offset:2856
	s_waitcnt lgkmcnt(0)
	v_add_f16_e32 v12, v14, v4
	v_sub_f16_e32 v13, v4, v14
	v_cmpx_ne_u32_e32 0, v3
	s_xor_b32 s5, exec_lo, s5
	s_cbranch_execz .LBB0_17
; %bb.16:
	v_add_co_u32 v9, s0, s1, v7
	v_add_co_ci_u32_e64 v10, s0, s4, v8, s0
	v_add_f16_e32 v13, v14, v4
	v_sub_f16_e32 v4, v4, v14
	global_load_dword v9, v[9:10], off
	ds_read_u16 v10, v11 offset:2858
	ds_read_u16 v12, v0 offset:2
	s_waitcnt lgkmcnt(0)
	v_add_f16_e32 v14, v10, v12
	v_sub_f16_e32 v10, v12, v10
	s_waitcnt vmcnt(0)
	v_lshrrev_b32_e32 v15, 16, v9
	v_fma_f16 v16, -v4, v15, v13
	v_fma_f16 v17, v14, v15, -v10
	v_fma_f16 v12, v4, v15, v13
	v_fma_f16 v13, v14, v15, v10
	v_fmac_f16_e32 v16, v9, v14
	v_fmac_f16_e32 v17, v4, v9
	v_fma_f16 v12, -v9, v14, v12
	v_fmac_f16_e32 v13, v4, v9
	v_pack_b32_f16 v10, v16, v17
	ds_write_b32 v11, v10 offset:2856
.LBB0_17:
	s_andn2_saveexec_b32 s0, s5
	s_cbranch_execz .LBB0_19
; %bb.18:
	v_mov_b32_e32 v4, 0
	ds_read_b32 v9, v4 offset:1428
	s_waitcnt lgkmcnt(0)
	v_pk_mul_f16 v9, 0xc0004000, v9
	ds_write_b32 v4, v9 offset:1428
.LBB0_19:
	s_or_b32 exec_lo, exec_lo, s0
	v_mov_b32_e32 v4, 0
	v_perm_b32 v12, v13, v12, 0x5040100
	v_lshlrev_b64 v[9:10], 2, v[3:4]
	v_add_co_u32 v14, s0, s1, v9
	v_add_co_ci_u32_e64 v15, s0, s4, v10, s0
	v_cmp_gt_u32_e64 s0, 34, v3
	s_clause 0x5
	global_load_dword v4, v[14:15], off offset:204
	global_load_dword v16, v[14:15], off offset:408
	;; [unrolled: 1-line block ×6, first 2 shown]
	ds_write_b32 v0, v12
	ds_read_b32 v12, v0 offset:204
	ds_read_b32 v13, v11 offset:2652
	s_waitcnt lgkmcnt(0)
	v_add_f16_e32 v15, v12, v13
	v_add_f16_sdwa v20, v13, v12 dst_sel:DWORD dst_unused:UNUSED_PAD src0_sel:WORD_1 src1_sel:WORD_1
	v_sub_f16_e32 v21, v12, v13
	v_sub_f16_sdwa v12, v12, v13 dst_sel:DWORD dst_unused:UNUSED_PAD src0_sel:WORD_1 src1_sel:WORD_1
	s_waitcnt vmcnt(5)
	v_lshrrev_b32_e32 v22, 16, v4
	v_fma_f16 v13, v21, v22, v15
	v_fma_f16 v23, v20, v22, v12
	v_fma_f16 v15, -v21, v22, v15
	v_fma_f16 v12, v20, v22, -v12
	v_fma_f16 v13, -v4, v20, v13
	v_fmac_f16_e32 v23, v21, v4
	v_fmac_f16_e32 v15, v4, v20
	;; [unrolled: 1-line block ×3, first 2 shown]
	v_pack_b32_f16 v4, v13, v23
	s_waitcnt vmcnt(4)
	v_lshrrev_b32_e32 v13, 16, v16
	v_pack_b32_f16 v12, v15, v12
	ds_write_b32 v0, v4 offset:204
	ds_write_b32 v11, v12 offset:2652
	ds_read_b32 v4, v0 offset:408
	ds_read_b32 v12, v11 offset:2448
	s_waitcnt lgkmcnt(0)
	v_add_f16_e32 v15, v4, v12
	v_add_f16_sdwa v20, v12, v4 dst_sel:DWORD dst_unused:UNUSED_PAD src0_sel:WORD_1 src1_sel:WORD_1
	v_sub_f16_e32 v21, v4, v12
	v_sub_f16_sdwa v4, v4, v12 dst_sel:DWORD dst_unused:UNUSED_PAD src0_sel:WORD_1 src1_sel:WORD_1
	v_fma_f16 v12, v21, v13, v15
	v_fma_f16 v22, v20, v13, v4
	v_fma_f16 v15, -v21, v13, v15
	v_fma_f16 v4, v20, v13, -v4
	s_waitcnt vmcnt(3)
	v_lshrrev_b32_e32 v13, 16, v17
	v_fma_f16 v12, -v16, v20, v12
	v_fmac_f16_e32 v22, v21, v16
	v_fmac_f16_e32 v15, v16, v20
	;; [unrolled: 1-line block ×3, first 2 shown]
	v_pack_b32_f16 v12, v12, v22
	v_add_nc_u32_e32 v22, 0x800, v0
	v_pack_b32_f16 v4, v15, v4
	ds_write_b32 v0, v12 offset:408
	ds_write_b32 v11, v4 offset:2448
	ds_read_b32 v4, v0 offset:612
	ds_read_b32 v12, v11 offset:2244
	s_waitcnt lgkmcnt(0)
	v_add_f16_e32 v15, v4, v12
	v_add_f16_sdwa v16, v12, v4 dst_sel:DWORD dst_unused:UNUSED_PAD src0_sel:WORD_1 src1_sel:WORD_1
	v_sub_f16_e32 v20, v4, v12
	v_sub_f16_sdwa v4, v4, v12 dst_sel:DWORD dst_unused:UNUSED_PAD src0_sel:WORD_1 src1_sel:WORD_1
	v_fma_f16 v12, v20, v13, v15
	v_fma_f16 v21, v16, v13, v4
	v_fma_f16 v15, -v20, v13, v15
	v_fma_f16 v4, v16, v13, -v4
	s_waitcnt vmcnt(2)
	v_lshrrev_b32_e32 v13, 16, v18
	v_fma_f16 v12, -v17, v16, v12
	v_fmac_f16_e32 v21, v20, v17
	v_fmac_f16_e32 v15, v17, v16
	v_fmac_f16_e32 v4, v20, v17
	v_pack_b32_f16 v12, v12, v21
	v_pack_b32_f16 v4, v15, v4
	ds_write_b32 v0, v12 offset:612
	ds_write_b32 v11, v4 offset:2244
	ds_read_b32 v4, v0 offset:816
	ds_read_b32 v12, v11 offset:2040
	s_waitcnt lgkmcnt(0)
	v_add_f16_e32 v15, v4, v12
	v_add_f16_sdwa v16, v12, v4 dst_sel:DWORD dst_unused:UNUSED_PAD src0_sel:WORD_1 src1_sel:WORD_1
	v_sub_f16_e32 v17, v4, v12
	v_sub_f16_sdwa v4, v4, v12 dst_sel:DWORD dst_unused:UNUSED_PAD src0_sel:WORD_1 src1_sel:WORD_1
	v_fma_f16 v12, v17, v13, v15
	v_fma_f16 v20, v16, v13, v4
	v_fma_f16 v15, -v17, v13, v15
	v_fma_f16 v4, v16, v13, -v4
	s_waitcnt vmcnt(1)
	v_lshrrev_b32_e32 v13, 16, v19
	v_fma_f16 v12, -v18, v16, v12
	v_fmac_f16_e32 v20, v17, v18
	v_fmac_f16_e32 v15, v18, v16
	v_fmac_f16_e32 v4, v17, v18
	v_pack_b32_f16 v12, v12, v20
	;; [unrolled: 21-line block ×3, first 2 shown]
	v_pack_b32_f16 v4, v15, v4
	ds_write_b32 v0, v12 offset:1020
	ds_write_b32 v11, v4 offset:1836
	ds_read_b32 v4, v0 offset:1224
	ds_read_b32 v12, v11 offset:1632
	s_waitcnt lgkmcnt(0)
	v_add_f16_e32 v15, v4, v12
	v_add_f16_sdwa v16, v12, v4 dst_sel:DWORD dst_unused:UNUSED_PAD src0_sel:WORD_1 src1_sel:WORD_1
	v_sub_f16_e32 v17, v4, v12
	v_sub_f16_sdwa v4, v4, v12 dst_sel:DWORD dst_unused:UNUSED_PAD src0_sel:WORD_1 src1_sel:WORD_1
	v_fma_f16 v12, v17, v13, v15
	v_fma_f16 v18, v16, v13, v4
	v_fma_f16 v15, -v17, v13, v15
	v_fma_f16 v4, v16, v13, -v4
	v_fma_f16 v12, -v14, v16, v12
	v_fmac_f16_e32 v18, v17, v14
	v_fmac_f16_e32 v15, v14, v16
	;; [unrolled: 1-line block ×3, first 2 shown]
	v_add_nc_u32_e32 v14, 0x600, v0
	v_add_nc_u32_e32 v17, 0x400, v0
	v_pack_b32_f16 v12, v12, v18
	v_pack_b32_f16 v4, v15, v4
	ds_write_b32 v0, v12 offset:1224
	ds_write_b32 v11, v4 offset:1632
	s_waitcnt lgkmcnt(0)
	s_barrier
	buffer_gl0_inv
	s_barrier
	buffer_gl0_inv
	ds_read2_b32 v[12:13], v0 offset1:51
	ds_read2_b32 v[15:16], v0 offset0:204 offset1:238
	ds_read2_b32 v[18:19], v0 offset0:102 offset1:153
	;; [unrolled: 1-line block ×4, first 2 shown]
	ds_read_b32 v28, v0 offset:2720
	ds_read2_b32 v[24:25], v14 offset0:92 offset1:143
	ds_read2_b32 v[26:27], v17 offset0:33 offset1:84
	v_lshlrev_b32_e32 v4, 3, v3
	s_waitcnt lgkmcnt(0)
	s_barrier
	buffer_gl0_inv
	v_add_nc_u32_e32 v4, v0, v4
	v_add_nc_u32_e32 v29, 0x4c8, v4
	v_add_nc_u32_e32 v30, 0x400, v4
	v_add_nc_u32_e32 v31, 0x730, v4
	v_pk_add_f16 v11, v12, v16
	v_pk_add_f16 v32, v15, v21
	;; [unrolled: 1-line block ×3, first 2 shown]
	v_pk_add_f16 v21, v21, v28 neg_lo:[0,1] neg_hi:[0,1]
	v_pk_add_f16 v34, v16, v24
	v_pk_add_f16 v16, v16, v24 neg_lo:[0,1] neg_hi:[0,1]
	v_pk_add_f16 v35, v13, v26
	v_pk_add_f16 v36, v26, v25
	v_pk_add_f16 v26, v26, v25 neg_lo:[0,1] neg_hi:[0,1]
	v_pk_add_f16 v37, v18, v27
	;; [unrolled: 3-line block ×4, first 2 shown]
	v_pk_fma_f16 v15, v33, 0.5, v15 op_sel_hi:[1,0,1] neg_lo:[1,0,0] neg_hi:[1,0,0]
	v_pk_mul_f16 v21, 0x3aee, v21 op_sel_hi:[0,1]
	v_pk_fma_f16 v12, v34, 0.5, v12 op_sel_hi:[1,0,1] neg_lo:[1,0,0] neg_hi:[1,0,0]
	v_pk_mul_f16 v24, 0x3aee, v16 op_sel_hi:[0,1]
	;; [unrolled: 2-line block ×4, first 2 shown]
	v_pk_add_f16 v14, v14, v23
	v_pk_fma_f16 v23, v17, 0.5, v19 op_sel_hi:[1,0,1] neg_lo:[1,0,0] neg_hi:[1,0,0]
	v_pk_mul_f16 v20, 0x3aee, v20 op_sel_hi:[0,1]
	v_pk_add_f16 v16, v35, v25
	v_pk_add_f16 v25, v15, v21 op_sel:[0,1] op_sel_hi:[1,0] neg_lo:[0,1] neg_hi:[0,1]
	v_pk_add_f16 v33, v15, v21 op_sel:[0,1] op_sel_hi:[1,0]
	v_pk_add_f16 v15, v12, v24 op_sel:[0,1] op_sel_hi:[1,0] neg_lo:[0,1] neg_hi:[0,1]
	v_pk_add_f16 v12, v12, v24 op_sel:[0,1] op_sel_hi:[1,0]
	v_pk_add_f16 v17, v37, v22
	v_pk_add_f16 v22, v13, v26 op_sel:[0,1] op_sel_hi:[1,0] neg_lo:[0,1] neg_hi:[0,1]
	v_pk_add_f16 v21, v13, v26 op_sel:[0,1] op_sel_hi:[1,0]
	v_pk_add_f16 v13, v18, v27 op_sel:[0,1] op_sel_hi:[1,0] neg_lo:[0,1] neg_hi:[0,1]
	v_pk_add_f16 v18, v18, v27 op_sel:[0,1] op_sel_hi:[1,0]
	v_pk_add_f16 v19, v32, v28
	v_pk_add_f16 v48, v23, v20 op_sel:[0,1] op_sel_hi:[1,0]
	v_pk_add_f16 v24, v23, v20 op_sel:[0,1] op_sel_hi:[1,0] neg_lo:[0,1] neg_hi:[0,1]
	v_bfi_b32 v20, 0xffff, v12, v15
	v_bfi_b32 v23, 0xffff, v21, v22
	;; [unrolled: 1-line block ×8, first 2 shown]
	ds_write2_b32 v4, v11, v20 offset1:1
	ds_write2_b32 v4, v16, v23 offset0:153 offset1:154
	ds_write2_b32 v4, v26, v27 offset0:2 offset1:155
	ds_write2_b32 v29, v17, v28 offset1:1
	ds_write2_b32 v30, v32, v14 offset0:52 offset1:203
	ds_write2_b32 v31, v35, v34 offset1:1
	s_and_saveexec_b32 s1, s0
	s_cbranch_execz .LBB0_21
; %bb.20:
	v_add_nc_u32_e32 v20, 0x994, v4
	v_bfi_b32 v23, 0xffff, v25, v33
	v_bfi_b32 v26, 0xffff, v33, v25
	ds_write_b32 v4, v19 offset:2448
	ds_write2_b32 v20, v26, v23 offset1:1
.LBB0_21:
	s_or_b32 exec_lo, exec_lo, s1
	v_lshrrev_b32_e32 v43, 16, v12
	v_lshrrev_b32_e32 v50, 16, v21
	;; [unrolled: 1-line block ×3, first 2 shown]
	v_cmp_gt_u32_e64 s0, 42, v3
	v_lshrrev_b32_e32 v45, 16, v25
	v_lshrrev_b32_e32 v47, 16, v15
	;; [unrolled: 1-line block ×7, first 2 shown]
	s_waitcnt lgkmcnt(0)
	s_barrier
	buffer_gl0_inv
                                        ; implicit-def: $vgpr56
                                        ; implicit-def: $vgpr44
                                        ; implicit-def: $vgpr57
	s_and_saveexec_b32 s1, s0
	s_cbranch_execz .LBB0_23
; %bb.22:
	v_add_nc_u32_e32 v4, 0x200, v0
	v_add_nc_u32_e32 v19, 0x400, v0
	;; [unrolled: 1-line block ×4, first 2 shown]
	ds_read2_b32 v[11:12], v0 offset1:42
	ds_read2_b32 v[15:16], v0 offset0:84 offset1:126
	ds_read_b32 v44, v0 offset:2688
	ds_read2_b32 v[21:22], v0 offset0:168 offset1:210
	ds_read2_b32 v[17:18], v4 offset0:124 offset1:166
	;; [unrolled: 1-line block ×6, first 2 shown]
	s_waitcnt lgkmcnt(8)
	v_lshrrev_b32_e32 v47, 16, v12
	s_waitcnt lgkmcnt(7)
	v_lshrrev_b32_e32 v43, 16, v15
	;; [unrolled: 2-line block ×3, first 2 shown]
	v_lshrrev_b32_e32 v52, 16, v16
	s_waitcnt lgkmcnt(5)
	v_lshrrev_b32_e32 v53, 16, v21
	v_lshrrev_b32_e32 v50, 16, v22
	s_waitcnt lgkmcnt(4)
	v_lshrrev_b32_e32 v51, 16, v18
	s_waitcnt lgkmcnt(3)
	;; [unrolled: 2-line block ×5, first 2 shown]
	v_lshrrev_b32_e32 v57, 16, v26
	v_lshrrev_b32_e32 v55, 16, v17
	v_bfi_b32 v48, 0xffff, v23, v24
	v_bfi_b32 v33, 0xffff, v20, v25
.LBB0_23:
	s_or_b32 exec_lo, exec_lo, s1
	s_barrier
	buffer_gl0_inv
	s_and_saveexec_b32 s1, s0
	s_cbranch_execz .LBB0_25
; %bb.24:
	v_and_b32_e32 v4, 0xff, v3
	v_mov_b32_e32 v23, 6
	v_lshrrev_b32_e32 v74, 16, v33
	v_lshrrev_b32_e32 v75, 16, v19
	;; [unrolled: 1-line block ×3, first 2 shown]
	v_mul_lo_u16 v4, 0xab, v4
	v_lshrrev_b32_e32 v76, 16, v48
	v_lshrrev_b16 v4, 9, v4
	v_mul_lo_u16 v20, v4, 3
	v_sub_nc_u16 v20, v3, v20
	v_lshlrev_b32_sdwa v23, v23, v20 dst_sel:DWORD dst_unused:UNUSED_PAD src0_sel:DWORD src1_sel:BYTE_0
	s_clause 0x3
	global_load_dwordx4 v[58:61], v23, s[12:13] offset:48
	global_load_dwordx4 v[62:65], v23, s[12:13]
	global_load_dwordx4 v[66:69], v23, s[12:13] offset:32
	global_load_dwordx4 v[70:73], v23, s[12:13] offset:16
	s_waitcnt vmcnt(3)
	v_mul_f16_sdwa v23, v44, v61 dst_sel:DWORD dst_unused:UNUSED_PAD src0_sel:DWORD src1_sel:WORD_1
	s_waitcnt vmcnt(2)
	v_mul_f16_sdwa v46, v12, v62 dst_sel:DWORD dst_unused:UNUSED_PAD src0_sel:DWORD src1_sel:WORD_1
	v_mul_f16_sdwa v32, v57, v60 dst_sel:DWORD dst_unused:UNUSED_PAD src0_sel:DWORD src1_sel:WORD_1
	;; [unrolled: 1-line block ×8, first 2 shown]
	s_waitcnt vmcnt(1)
	v_mul_f16_sdwa v86, v75, v69 dst_sel:DWORD dst_unused:UNUSED_PAD src0_sel:DWORD src1_sel:WORD_1
	s_waitcnt vmcnt(0)
	v_mul_f16_sdwa v87, v55, v71 dst_sel:DWORD dst_unused:UNUSED_PAD src0_sel:DWORD src1_sel:WORD_1
	v_mul_f16_sdwa v91, v49, v73 dst_sel:DWORD dst_unused:UNUSED_PAD src0_sel:DWORD src1_sel:WORD_1
	;; [unrolled: 1-line block ×3, first 2 shown]
	v_fmac_f16_e32 v23, v56, v61
	v_fmac_f16_e32 v46, v47, v62
	v_mul_f16_sdwa v28, v25, v59 dst_sel:DWORD dst_unused:UNUSED_PAD src0_sel:DWORD src1_sel:WORD_1
	v_mul_f16_sdwa v29, v33, v58 dst_sel:DWORD dst_unused:UNUSED_PAD src0_sel:DWORD src1_sel:WORD_1
	;; [unrolled: 1-line block ×12, first 2 shown]
	v_fma_f16 v26, v26, v60, -v32
	v_fma_f16 v32, v25, v59, -v78
	;; [unrolled: 1-line block ×3, first 2 shown]
	v_fmac_f16_e32 v27, v57, v60
	v_fmac_f16_e32 v42, v43, v63
	;; [unrolled: 1-line block ×3, first 2 shown]
	v_fma_f16 v47, v12, v62, -v80
	v_fma_f16 v12, v19, v69, -v86
	;; [unrolled: 1-line block ×5, first 2 shown]
	v_add_f16_e32 v14, v46, v23
	v_sub_f16_e32 v53, v46, v23
	v_mul_f16_sdwa v83, v52, v64 dst_sel:DWORD dst_unused:UNUSED_PAD src0_sel:DWORD src1_sel:WORD_1
	v_mul_f16_sdwa v38, v22, v70 dst_sel:DWORD dst_unused:UNUSED_PAD src0_sel:DWORD src1_sel:WORD_1
	;; [unrolled: 1-line block ×5, first 2 shown]
	v_fmac_f16_e32 v28, v74, v59
	v_fmac_f16_e32 v29, v45, v58
	v_fma_f16 v33, v33, v58, -v81
	v_fma_f16 v45, v15, v63, -v82
	v_fmac_f16_e32 v41, v52, v64
	v_fma_f16 v43, v21, v65, -v84
	v_fma_f16 v21, v22, v70, -v85
	v_fmac_f16_e32 v31, v76, v68
	v_sub_f16_e32 v22, v47, v25
	v_add_f16_e32 v76, v47, v25
	v_add_f16_sdwa v60, v11, v46 dst_sel:DWORD dst_unused:UNUSED_PAD src0_sel:WORD_1 src1_sel:DWORD
	v_add_f16_e32 v46, v42, v27
	v_sub_f16_e32 v58, v42, v27
	v_mul_f16_e32 v78, 0xbbf7, v53
	v_mul_f16_e32 v79, 0xb461, v14
	;; [unrolled: 1-line block ×4, first 2 shown]
	v_mul_f16_sdwa v34, v48, v67 dst_sel:DWORD dst_unused:UNUSED_PAD src0_sel:DWORD src1_sel:WORD_1
	v_mul_f16_sdwa v39, v18, v72 dst_sel:DWORD dst_unused:UNUSED_PAD src0_sel:DWORD src1_sel:WORD_1
	v_fma_f16 v44, v16, v64, -v83
	v_fma_f16 v15, v24, v68, -v88
	;; [unrolled: 1-line block ×4, first 2 shown]
	v_fmac_f16_e32 v35, v77, v66
	v_sub_f16_e32 v62, v45, v26
	v_add_f16_e32 v24, v45, v26
	v_add_f16_e32 v48, v41, v28
	v_sub_f16_e32 v61, v41, v28
	v_mul_f16_e32 v77, 0x2de8, v14
	v_mul_f16_e32 v81, 0xb8d2, v14
	;; [unrolled: 1-line block ×16, first 2 shown]
	v_fmamk_f16 v90, v22, 0x3bb2, v79
	v_fmamk_f16 v170, v76, 0xb8d2, v82
	;; [unrolled: 1-line block ×4, first 2 shown]
	v_fmac_f16_e32 v30, v75, v69
	v_fmac_f16_e32 v38, v50, v70
	v_add_f16_e32 v59, v11, v47
	v_sub_f16_e32 v64, v44, v32
	v_add_f16_e32 v47, v44, v32
	v_add_f16_e32 v50, v40, v29
	v_sub_f16_e32 v63, v40, v29
	v_mul_f16_e32 v94, 0xbbdd, v46
	v_mul_f16_e32 v98, 0xb461, v46
	;; [unrolled: 1-line block ×8, first 2 shown]
	v_fmamk_f16 v53, v22, 0x3bf7, v77
	v_fmamk_f16 v164, v22, 0x3a62, v81
	;; [unrolled: 1-line block ×4, first 2 shown]
	v_fmac_f16_e32 v85, 0xb1e1, v22
	v_fmac_f16_e32 v83, 0xb836, v22
	;; [unrolled: 1-line block ×5, first 2 shown]
	v_fmamk_f16 v22, v14, 0x3722, v86
	v_fmamk_f16 v167, v14, 0x39e9, v87
	;; [unrolled: 1-line block ×3, first 2 shown]
	v_fma_f16 v86, v14, 0x3722, -v86
	v_fma_f16 v169, v14, 0x39e9, -v87
	;; [unrolled: 1-line block ×3, first 2 shown]
	v_fmamk_f16 v87, v76, 0xbbdd, v89
	v_fma_f16 v88, v76, 0xbbdd, -v89
	v_fmamk_f16 v89, v76, 0xbacd, v84
	v_fma_f16 v84, v76, 0xbacd, -v84
	v_fma_f16 v82, v76, 0xb8d2, -v82
	;; [unrolled: 1-line block ×5, first 2 shown]
	v_fmac_f16_e32 v91, 0x3722, v76
	v_fma_f16 v174, v76, 0x39e9, -v92
	v_fmac_f16_e32 v92, 0x39e9, v76
	v_fma_f16 v175, v76, 0x3b76, -v93
	v_fmac_f16_e32 v93, 0x3b76, v76
	v_fmamk_f16 v176, v24, 0xbbdd, v95
	v_fmamk_f16 v177, v62, 0xb836, v96
	;; [unrolled: 1-line block ×4, first 2 shown]
	v_add_f16_e32 v172, v11, v172
	v_add_f16_sdwa v196, v11, v90 dst_sel:DWORD dst_unused:UNUSED_PAD src0_sel:WORD_1 src1_sel:DWORD
	v_add_f16_e32 v171, v11, v171
	v_add_f16_e32 v170, v11, v170
	v_fmac_f16_e32 v37, v55, v71
	v_fmac_f16_e32 v36, v49, v73
	v_sub_f16_e32 v66, v43, v33
	v_add_f16_e32 v49, v43, v33
	v_add_f16_e32 v52, v38, v30
	v_sub_f16_e32 v65, v38, v30
	v_mul_f16_e32 v102, 0x3b76, v46
	v_mul_f16_e32 v103, 0x35c8, v58
	;; [unrolled: 1-line block ×10, first 2 shown]
	v_fmamk_f16 v76, v62, 0x31e1, v94
	v_fmamk_f16 v179, v62, 0xbbb2, v98
	;; [unrolled: 1-line block ×8, first 2 shown]
	v_add_f16_sdwa v195, v11, v53 dst_sel:DWORD dst_unused:UNUSED_PAD src0_sel:WORD_1 src1_sel:DWORD
	v_add_f16_sdwa v164, v11, v164 dst_sel:DWORD dst_unused:UNUSED_PAD src0_sel:WORD_1 src1_sel:DWORD
	;; [unrolled: 1-line block ×3, first 2 shown]
	v_add_f16_e32 v89, v11, v89
	v_add_f16_sdwa v166, v11, v166 dst_sel:DWORD dst_unused:UNUSED_PAD src0_sel:WORD_1 src1_sel:DWORD
	v_add_f16_e32 v197, v11, v87
	v_add_f16_sdwa v198, v11, v85 dst_sel:DWORD dst_unused:UNUSED_PAD src0_sel:WORD_1 src1_sel:DWORD
	;; [unrolled: 2-line block ×12, first 2 shown]
	v_add_f16_e32 v11, v11, v93
	v_add_f16_e32 v80, v176, v172
	;; [unrolled: 1-line block ×5, first 2 shown]
	v_fmac_f16_e32 v34, v54, v67
	v_fmac_f16_e32 v39, v51, v72
	v_sub_f16_e32 v68, v21, v12
	v_add_f16_e32 v51, v21, v12
	v_add_f16_e32 v55, v37, v31
	v_sub_f16_e32 v67, v37, v31
	v_mul_f16_e32 v112, 0xbacd, v48
	v_mul_f16_e32 v113, 0xb836, v61
	;; [unrolled: 1-line block ×10, first 2 shown]
	v_fmamk_f16 v183, v62, 0xb5c8, v102
	v_fmamk_f16 v184, v24, 0x3b76, v103
	v_fmac_f16_e32 v102, 0x35c8, v62
	v_fmamk_f16 v185, v64, 0xbbb2, v104
	v_fmamk_f16 v189, v64, 0x35c8, v108
	;; [unrolled: 1-line block ×5, first 2 shown]
	v_add_f16_e32 v76, v76, v195
	v_fmamk_f16 v79, v66, 0x3b29, v116
	v_fmamk_f16 v81, v49, 0x3722, v117
	;; [unrolled: 1-line block ×3, first 2 shown]
	v_add_f16_e32 v91, v179, v164
	v_add_f16_e32 v165, v181, v165
	;; [unrolled: 1-line block ×3, first 2 shown]
	v_fma_f16 v103, v24, 0x3b76, -v103
	v_add_f16_e32 v80, v186, v80
	v_add_f16_e32 v82, v187, v82
	;; [unrolled: 1-line block ×4, first 2 shown]
	v_sub_f16_e32 v70, v19, v15
	v_add_f16_e32 v54, v19, v15
	v_add_f16_e32 v57, v39, v34
	v_sub_f16_e32 v69, v39, v34
	v_mul_f16_e32 v122, 0x39e9, v50
	v_mul_f16_e32 v123, 0x3964, v63
	;; [unrolled: 1-line block ×9, first 2 shown]
	v_fmamk_f16 v193, v64, 0x3836, v112
	v_fmamk_f16 v194, v47, 0xbacd, v113
	v_fmac_f16_e32 v112, 0xb836, v64
	v_fmamk_f16 v77, v66, 0xb5c8, v114
	v_fmamk_f16 v83, v66, 0x3836, v118
	;; [unrolled: 1-line block ×4, first 2 shown]
	v_add_f16_e32 v166, v183, v166
	v_add_f16_e32 v172, v184, v197
	v_fmamk_f16 v175, v51, 0x3722, v125
	v_add_f16_e32 v102, v102, v198
	v_fmamk_f16 v176, v68, 0x31e1, v126
	;; [unrolled: 2-line block ×4, first 2 shown]
	v_add_f16_e32 v91, v189, v91
	v_add_f16_e32 v165, v191, v165
	;; [unrolled: 1-line block ×7, first 2 shown]
	v_sub_f16_e32 v71, v18, v16
	v_add_f16_e32 v56, v18, v16
	v_add_f16_e32 v73, v36, v35
	v_sub_f16_e32 v74, v36, v35
	v_mul_f16_e32 v124, 0x3722, v52
	v_mul_f16_e32 v133, 0xba62, v65
	;; [unrolled: 1-line block ×9, first 2 shown]
	v_fmamk_f16 v169, v66, 0xb964, v122
	v_fmamk_f16 v170, v49, 0x39e9, v123
	v_fmac_f16_e32 v122, 0x3964, v66
	v_fmamk_f16 v177, v68, 0xbbf7, v128
	v_fmamk_f16 v179, v68, 0x35c8, v130
	;; [unrolled: 1-line block ×4, first 2 shown]
	v_add_f16_e32 v166, v193, v166
	v_fmamk_f16 v185, v70, 0xbbf7, v136
	v_add_f16_e32 v172, v194, v172
	v_fmamk_f16 v186, v54, 0x2de8, v137
	v_add_f16_e32 v102, v112, v102
	v_add_f16_e32 v76, v77, v76
	v_fmamk_f16 v77, v54, 0x39e9, v139
	v_add_f16_e32 v83, v83, v91
	v_add_f16_e32 v92, v92, v165
	;; [unrolled: 1-line block ×7, first 2 shown]
	v_sub_f16_e32 v75, v17, v13
	v_add_f16_e32 v72, v17, v13
	v_mul_f16_e32 v132, 0xb8d2, v52
	v_mul_f16_e32 v134, 0xbacd, v55
	;; [unrolled: 1-line block ×10, first 2 shown]
	v_fmamk_f16 v171, v68, 0x3b29, v124
	v_fmamk_f16 v182, v51, 0xb8d2, v133
	;; [unrolled: 1-line block ×7, first 2 shown]
	v_add_f16_e32 v166, v169, v166
	v_fmamk_f16 v169, v56, 0x3b76, v147
	v_add_f16_e32 v170, v170, v172
	v_add_f16_e32 v102, v122, v102
	v_fmamk_f16 v122, v56, 0xbbdd, v149
	v_add_f16_e32 v83, v177, v83
	v_add_f16_e32 v92, v179, v92
	;; [unrolled: 1-line block ×7, first 2 shown]
	v_mul_f16_e32 v142, 0x3722, v55
	v_mul_f16_e32 v158, 0x3722, v73
	;; [unrolled: 1-line block ×4, first 2 shown]
	v_fmamk_f16 v181, v68, 0x3a62, v132
	v_fmac_f16_e32 v132, 0xba62, v68
	v_fmamk_f16 v183, v70, 0x3836, v134
	v_fmamk_f16 v91, v54, 0x3722, v143
	;; [unrolled: 1-line block ×3, first 2 shown]
	v_add_f16_e32 v76, v171, v76
	v_fmamk_f16 v171, v71, 0xb964, v150
	v_fmamk_f16 v175, v56, 0x39e9, v151
	;; [unrolled: 1-line block ×5, first 2 shown]
	v_add_f16_e32 v170, v182, v170
	v_fmamk_f16 v182, v72, 0x3722, v159
	v_add_f16_e32 v83, v112, v83
	v_add_f16_e32 v80, v80, v92
	v_add_f16_e32 v82, v82, v89
	v_add_f16_e32 v78, v165, v78
	v_add_f16_e32 v79, v164, v79
	v_add_f16_e32 v81, v169, v81
	v_add_f16_e32 v89, v122, v77
	v_mul_f16_e32 v152, 0xb461, v57
	v_fmamk_f16 v84, v70, 0xbb29, v142
	v_add_f16_e32 v166, v181, v166
	v_fmamk_f16 v181, v75, 0xbb29, v158
	v_add_f16_e32 v102, v132, v102
	;; [unrolled: 2-line block ×4, first 2 shown]
	v_add_f16_e32 v83, v172, v83
	v_add_f16_e32 v91, v171, v80
	;; [unrolled: 1-line block ×7, first 2 shown]
	v_fma_f16 v89, v47, 0xbacd, -v113
	v_fmac_f16_e32 v142, 0x3b29, v70
	v_fmac_f16_e32 v100, 0x3b29, v62
	v_mul_f16_e32 v144, 0xb8d2, v57
	v_mul_f16_e32 v162, 0x2de8, v73
	v_fmamk_f16 v176, v71, 0x3bb2, v152
	v_add_f16_e32 v80, v181, v83
	v_add_f16_e32 v82, v132, v91
	;; [unrolled: 1-line block ×4, first 2 shown]
	v_fma_f16 v89, v49, 0x39e9, -v123
	v_add_f16_e32 v91, v142, v102
	v_fmac_f16_e32 v152, 0xbbb2, v71
	v_add_f16_e32 v92, v100, v199
	v_fmac_f16_e32 v110, 0xbbf7, v64
	v_fmamk_f16 v93, v71, 0xba62, v144
	v_fmamk_f16 v184, v75, 0xbbf7, v162
	v_add_f16_e32 v88, v89, v88
	v_fma_f16 v89, v51, 0xb8d2, -v133
	v_add_f16_e32 v91, v152, v91
	v_fmac_f16_e32 v162, 0x3bf7, v75
	v_add_f16_e32 v92, v110, v92
	v_fmac_f16_e32 v120, 0x3a62, v66
	v_mul_f16_e32 v153, 0xbbb2, v69
	v_add_f16_e32 v76, v93, v76
	v_add_f16_e32 v89, v89, v88
	v_fma_f16 v93, v54, 0x3722, -v143
	v_add_f16_e32 v88, v162, v91
	v_fma_f16 v91, v24, 0x3722, -v101
	v_add_f16_e32 v92, v120, v92
	v_fmac_f16_e32 v130, 0xb5c8, v68
	v_mul_f16_e32 v163, 0x3bf7, v74
	v_add_f16_e32 v89, v93, v89
	v_fma_f16 v93, v56, 0xb461, -v153
	v_add_f16_e32 v91, v91, v200
	v_fma_f16 v100, v47, 0x2de8, -v111
	v_add_f16_e32 v92, v130, v92
	v_fmac_f16_e32 v140, 0xb1e1, v70
	v_add_f16_e32 v89, v93, v89
	v_fma_f16 v93, v72, 0x2de8, -v163
	v_add_f16_e32 v91, v100, v91
	v_fma_f16 v100, v49, 0xb8d2, -v121
	v_add_f16_e32 v92, v140, v92
	v_fmac_f16_e32 v150, 0x3964, v71
	v_add_f16_e32 v89, v93, v89
	v_fma_f16 v93, v51, 0x3b76, -v131
	v_add_f16_e32 v91, v100, v91
	v_fmac_f16_e32 v160, 0xbbb2, v75
	v_add_f16_e32 v92, v150, v92
	v_fma_f16 v100, v54, 0xbbdd, -v141
	v_fma_f16 v101, v49, 0xbacd, -v119
	v_add_f16_e32 v93, v93, v91
	v_fma_f16 v97, v24, 0xbacd, -v97
	v_add_f16_e32 v91, v160, v92
	v_fma_f16 v92, v24, 0xb461, -v99
	v_fma_f16 v99, v56, 0x39e9, -v151
	v_add_f16_e32 v93, v100, v93
	v_fma_f16 v100, v47, 0x3b76, -v109
	v_add_f16_e32 v97, v97, v204
	v_add_f16_e32 v92, v92, v202
	v_fma_f16 v95, v24, 0xbbdd, -v95
	v_add_f16_e32 v93, v99, v93
	v_fma_f16 v99, v72, 0xb461, -v161
	v_fmac_f16_e32 v94, 0xb1e1, v62
	v_add_f16_e32 v100, v100, v92
	v_add_f16_e32 v95, v95, v206
	v_fmamk_f16 v103, v56, 0xb461, v153
	v_add_f16_e32 v92, v99, v93
	v_fma_f16 v99, v51, 0x2de8, -v129
	v_add_f16_e32 v93, v101, v100
	v_fma_f16 v100, v47, 0x39e9, -v107
	v_fmac_f16_e32 v96, 0x3836, v62
	v_add_f16_e32 v94, v94, v205
	v_fmac_f16_e32 v104, 0x3bb2, v64
	v_add_f16_e32 v93, v99, v93
	v_fma_f16 v99, v54, 0x39e9, -v139
	v_add_f16_e32 v97, v100, v97
	v_fma_f16 v100, v47, 0xb461, -v105
	v_mul_f16_e32 v102, 0x31e1, v64
	v_add_f16_e32 v86, v103, v86
	v_add_f16_e32 v93, v99, v93
	v_fma_f16 v99, v56, 0xbbdd, -v149
	v_add_f16_e32 v95, v100, v95
	v_fma_f16 v100, v49, 0x3b76, -v115
	v_fmac_f16_e32 v98, 0x3bb2, v62
	v_add_f16_e32 v96, v96, v203
	v_add_f16_e32 v93, v99, v93
	v_fma_f16 v99, v72, 0x3722, -v159
	v_add_f16_e32 v95, v100, v95
	v_fma_f16 v100, v51, 0x3722, -v125
	v_fmac_f16_e32 v106, 0x3964, v64
	v_add_f16_e32 v94, v104, v94
	v_add_f16_e32 v93, v99, v93
	v_fma_f16 v99, v49, 0x3722, -v117
	v_add_f16_e32 v95, v100, v95
	v_fma_f16 v100, v54, 0xbacd, -v135
	v_fmamk_f16 v103, v48, 0xbbdd, v102
	v_mul_f16_e32 v104, 0x3bb2, v66
	v_add_f16_e32 v97, v99, v97
	v_fma_f16 v99, v51, 0xbbdd, -v127
	v_add_f16_e32 v95, v100, v95
	v_fma_f16 v100, v56, 0xb8d2, -v145
	v_mul_f16_e32 v105, 0xba62, v58
	v_add_f16_e32 v98, v98, v201
	v_add_f16_e32 v97, v99, v97
	v_fma_f16 v99, v54, 0x2de8, -v137
	v_fmac_f16_e32 v108, 0xb5c8, v64
	v_add_f16_e32 v96, v106, v96
	v_mul_f16_e32 v106, 0x3964, v68
	v_add_f16_e32 v95, v100, v95
	v_add_f16_e32 v97, v99, v97
	v_fma_f16 v99, v56, 0x3b76, -v147
	v_fma_f16 v100, v24, 0xb8d2, -v105
	v_mul_f16_e32 v107, 0x31e1, v61
	v_add_f16_e32 v45, v59, v45
	v_add_f16_e32 v42, v60, v42
	;; [unrolled: 1-line block ×3, first 2 shown]
	v_fma_f16 v99, v72, 0xb8d2, -v157
	v_add_f16_e32 v98, v108, v98
	v_mul_f16_e32 v108, 0xb5c8, v70
	v_add_f16_e32 v100, v100, v173
	v_fma_f16 v109, v47, 0xbbdd, -v107
	v_add_f16_e32 v97, v99, v97
	v_mul_f16_e32 v99, 0xba62, v62
	v_mul_f16_e32 v110, 0x3bb2, v63
	v_add_f16_e32 v44, v45, v44
	v_add_f16_e32 v41, v42, v41
	v_fmac_f16_e32 v114, 0x35c8, v66
	v_fmamk_f16 v101, v46, 0xb8d2, v99
	v_mul_f16_e32 v111, 0xbbf7, v71
	v_add_f16_e32 v100, v109, v100
	v_fma_f16 v109, v49, 0xb461, -v110
	v_mul_f16_e32 v112, 0x3964, v65
	v_add_f16_e32 v101, v101, v207
	v_add_f16_e32 v43, v44, v43
	;; [unrolled: 1-line block ×4, first 2 shown]
	v_fma_f16 v113, v72, 0x39e9, -v155
	v_add_f16_e32 v101, v103, v101
	v_fmamk_f16 v103, v50, 0xb461, v104
	v_add_f16_e32 v100, v109, v100
	v_fma_f16 v109, v51, 0x39e9, -v112
	v_mul_f16_e32 v114, 0xb5c8, v67
	v_add_f16_e32 v21, v43, v21
	v_add_f16_e32 v101, v103, v101
	v_fmamk_f16 v103, v52, 0x39e9, v106
	v_add_f16_e32 v38, v40, v38
	v_fmac_f16_e32 v116, 0xbb29, v66
	v_add_f16_e32 v95, v113, v95
	v_mul_f16_e32 v113, 0xbbf7, v62
	v_add_f16_e32 v101, v103, v101
	v_fmamk_f16 v103, v55, 0x3b76, v108
	v_add_f16_e32 v100, v109, v100
	v_mul_f16_e32 v109, 0xbbf7, v69
	v_add_f16_e32 v19, v21, v19
	v_add_f16_e32 v21, v38, v37
	;; [unrolled: 1-line block ×3, first 2 shown]
	v_fmamk_f16 v103, v57, 0x2de8, v111
	v_fmac_f16_e32 v118, 0xb836, v66
	v_add_f16_e32 v96, v116, v96
	v_fmamk_f16 v115, v46, 0x2de8, v113
	v_mul_f16_e32 v116, 0xba62, v64
	v_add_f16_e32 v101, v103, v101
	v_fma_f16 v103, v54, 0x3b76, -v114
	v_add_f16_e32 v18, v19, v18
	v_add_f16_e32 v19, v21, v39
	;; [unrolled: 1-line block ×3, first 2 shown]
	v_fmac_f16_e32 v124, 0xbb29, v68
	v_add_f16_e32 v100, v103, v100
	v_fma_f16 v103, v56, 0x2de8, -v109
	v_add_f16_e32 v115, v115, v167
	v_fmamk_f16 v118, v48, 0xb8d2, v116
	v_mul_f16_e32 v119, 0xb1e1, v66
	v_mul_f16_e32 v21, 0xb964, v58
	v_add_f16_e32 v100, v103, v100
	v_mul_f16_e32 v103, 0xbbf7, v58
	v_add_f16_e32 v17, v18, v17
	v_add_f16_e32 v18, v19, v36
	v_fmac_f16_e32 v126, 0xb1e1, v68
	v_add_f16_e32 v94, v124, v94
	v_add_f16_e32 v115, v118, v115
	v_fmamk_f16 v118, v50, 0xbbdd, v119
	v_mul_f16_e32 v121, 0x3836, v68
	v_fma_f16 v123, v24, 0x2de8, -v103
	v_mul_f16_e32 v124, 0xba62, v61
	v_fma_f16 v19, v24, 0x39e9, -v21
	v_mul_f16_e32 v36, 0xbb29, v61
	v_add_f16_e32 v13, v17, v13
	v_add_f16_e32 v17, v18, v35
	v_fmac_f16_e32 v128, 0x3bf7, v68
	v_add_f16_e32 v96, v126, v96
	v_add_f16_e32 v115, v118, v115
	v_fmamk_f16 v118, v52, 0xbacd, v121
	v_mul_f16_e32 v125, 0x3bb2, v70
	v_add_f16_e32 v123, v123, v174
	v_fma_f16 v126, v47, 0xb8d2, -v124
	v_mul_f16_e32 v127, 0xb1e1, v63
	v_add_f16_e32 v18, v19, v90
	v_fma_f16 v19, v47, 0x3722, -v36
	v_mul_f16_e32 v35, 0xbbf7, v63
	v_add_f16_e32 v13, v13, v16
	v_add_f16_e32 v16, v17, v34
	;; [unrolled: 1-line block ×4, first 2 shown]
	v_fmamk_f16 v118, v55, 0xb461, v125
	v_mul_f16_e32 v128, 0x3b29, v71
	v_add_f16_e32 v123, v126, v123
	v_fma_f16 v126, v49, 0xbbdd, -v127
	v_mul_f16_e32 v129, 0x3836, v65
	v_add_f16_e32 v17, v19, v18
	v_fma_f16 v18, v49, 0x2de8, -v35
	v_mul_f16_e32 v19, 0xbbb2, v65
	v_add_f16_e32 v13, v13, v15
	v_add_f16_e32 v15, v16, v31
	v_mul_f16_e32 v117, 0xb836, v75
	v_add_f16_e32 v115, v118, v115
	v_fmamk_f16 v118, v57, 0x3722, v128
	v_mul_f16_e32 v130, 0x35c8, v75
	v_add_f16_e32 v123, v126, v123
	v_fma_f16 v126, v51, 0xbacd, -v129
	v_mul_f16_e32 v131, 0x3bb2, v67
	v_add_f16_e32 v16, v18, v17
	v_fma_f16 v17, v51, 0xb461, -v19
	v_mul_f16_e32 v18, 0xba62, v67
	v_add_f16_e32 v12, v13, v12
	v_add_f16_e32 v13, v15, v30
	v_fmamk_f16 v120, v73, 0xbacd, v117
	v_add_f16_e32 v115, v118, v115
	v_fmamk_f16 v118, v73, 0x3b76, v130
	v_add_f16_e32 v123, v126, v123
	v_fma_f16 v126, v54, 0xb461, -v131
	v_mul_f16_e32 v62, 0xb964, v62
	v_add_f16_e32 v15, v17, v16
	v_fma_f16 v16, v54, 0xb8d2, -v18
	v_mul_f16_e32 v17, 0xb836, v69
	v_add_f16_e32 v13, v13, v29
	v_add_f16_e32 v101, v120, v101
	;; [unrolled: 1-line block ×4, first 2 shown]
	v_mul_f16_e32 v120, 0x3b29, v69
	v_fmamk_f16 v123, v46, 0x39e9, v62
	v_mul_f16_e32 v64, 0xbb29, v64
	v_add_f16_e32 v15, v16, v15
	v_fma_f16 v16, v56, 0xbacd, -v17
	v_add_f16_e32 v13, v13, v28
	v_fma_f16 v59, v56, 0x3722, -v120
	v_add_f16_e32 v60, v123, v168
	v_fmamk_f16 v123, v48, 0x3722, v64
	v_mul_f16_e32 v42, 0xbbf7, v66
	v_add_f16_e32 v15, v16, v15
	v_fma_f16 v16, v46, 0xb8d2, -v99
	v_add_f16_e32 v13, v13, v27
	v_add_f16_e32 v45, v59, v118
	;; [unrolled: 1-line block ×3, first 2 shown]
	v_fmamk_f16 v41, v50, 0x2de8, v42
	v_mul_f16_e32 v44, 0xbbb2, v68
	v_add_f16_e32 v16, v16, v87
	v_fma_f16 v27, v48, 0xbbdd, -v102
	v_add_f16_e32 v13, v13, v23
	v_fma_f16 v23, v46, 0x2de8, -v113
	v_add_f16_e32 v40, v41, v59
	v_fmamk_f16 v41, v52, 0xb461, v44
	v_mul_f16_e32 v43, 0xba62, v70
	v_add_f16_e32 v16, v27, v16
	v_add_f16_e32 v23, v23, v53
	v_fma_f16 v27, v48, 0xb8d2, -v116
	v_add_f16_e32 v38, v41, v40
	v_fmamk_f16 v40, v55, 0xb8d2, v43
	v_mul_f16_e32 v39, 0xb836, v71
	v_mul_f16_e32 v31, 0xb1e1, v75
	v_add_f16_e32 v23, v27, v23
	v_fma_f16 v27, v50, 0xbbdd, -v119
	v_add_f16_e32 v38, v40, v38
	v_fmamk_f16 v40, v57, 0xbacd, v39
	v_fmamk_f16 v30, v73, 0xbbdd, v31
	v_add_f16_e32 v12, v12, v33
	v_add_f16_e32 v23, v27, v23
	v_fma_f16 v27, v52, 0xbacd, -v121
	v_add_f16_e32 v34, v40, v38
	v_fmac_f16_e32 v105, 0xb8d2, v24
	v_add_f16_e32 v12, v12, v32
	v_fmac_f16_e32 v103, 0x2de8, v24
	v_add_f16_e32 v23, v27, v23
	v_fma_f16 v27, v55, 0xb461, -v125
	v_add_f16_e32 v29, v30, v34
	v_mul_f16_e32 v30, 0xb1e1, v74
	v_add_f16_e32 v12, v12, v26
	v_fmac_f16_e32 v21, 0x39e9, v24
	v_add_f16_e32 v23, v27, v23
	v_fma_f16 v27, v46, 0x39e9, -v62
	v_fma_f16 v26, v72, 0xbbdd, -v30
	;; [unrolled: 1-line block ×3, first 2 shown]
	v_add_f16_e32 v12, v12, v25
	v_add_f16_e32 v25, v105, v85
	v_add_f16_e32 v14, v27, v14
	v_fma_f16 v27, v48, 0x3722, -v64
	v_add_f16_e32 v15, v26, v15
	v_fma_f16 v26, v50, 0xb461, -v104
	v_fmac_f16_e32 v107, 0xbbdd, v47
	v_add_f16_e32 v22, v103, v22
	v_add_f16_e32 v14, v27, v14
	v_fmac_f16_e32 v124, 0xb8d2, v47
	v_add_f16_e32 v16, v26, v16
	v_fma_f16 v26, v52, 0x39e9, -v106
	v_add_f16_e32 v11, v21, v11
	v_fmac_f16_e32 v36, 0x3722, v47
	v_add_f16_e32 v14, v24, v14
	v_fma_f16 v21, v52, 0xb461, -v44
	v_add_f16_e32 v25, v107, v25
	v_fmac_f16_e32 v110, 0xb461, v49
	v_add_f16_e32 v16, v26, v16
	v_fma_f16 v26, v55, 0x3b76, -v108
	v_add_f16_e32 v22, v124, v22
	v_fmac_f16_e32 v127, 0xbbdd, v49
	v_add_f16_e32 v11, v36, v11
	v_fmac_f16_e32 v35, 0x2de8, v49
	v_add_f16_e32 v14, v21, v14
	v_fma_f16 v21, v55, 0xb8d2, -v43
	v_fmac_f16_e32 v136, 0x3bf7, v70
	v_fmac_f16_e32 v134, 0xb836, v70
	;; [unrolled: 1-line block ×3, first 2 shown]
	v_add_f16_e32 v25, v110, v25
	v_fmac_f16_e32 v112, 0x39e9, v51
	v_add_f16_e32 v16, v26, v16
	v_fma_f16 v26, v57, 0x2de8, -v111
	v_add_f16_e32 v22, v127, v22
	v_fmac_f16_e32 v129, 0xbacd, v51
	v_add_f16_e32 v11, v35, v11
	v_fmac_f16_e32 v19, 0xb461, v51
	v_add_f16_e32 v14, v21, v14
	v_fma_f16 v21, v57, 0xbacd, -v39
	v_mul_f16_e32 v122, 0xb836, v74
	v_mul_f16_e32 v60, 0x35c8, v74
	;; [unrolled: 1-line block ×3, first 2 shown]
	v_add_f16_e32 v96, v136, v96
	v_fmac_f16_e32 v146, 0xb5c8, v71
	v_add_f16_e32 v94, v134, v94
	v_fmac_f16_e32 v144, 0x3a62, v71
	;; [unrolled: 2-line block ×4, first 2 shown]
	v_add_f16_e32 v16, v26, v16
	v_fma_f16 v26, v73, 0xbacd, -v117
	v_add_f16_e32 v22, v129, v22
	v_fmac_f16_e32 v131, 0xb461, v54
	v_add_f16_e32 v11, v19, v11
	v_fmac_f16_e32 v18, 0xb8d2, v54
	v_add_f16_e32 v84, v84, v166
	v_add_f16_e32 v14, v21, v14
	v_mov_b32_e32 v19, 0xcc
	v_mov_b32_e32 v21, 2
	v_fma_f16 v132, v72, 0xbacd, -v122
	v_fma_f16 v37, v72, 0x3b76, -v60
	v_fmamk_f16 v177, v75, 0xb964, v154
	v_add_f16_e32 v96, v146, v96
	v_fmac_f16_e32 v156, 0xba62, v75
	v_add_f16_e32 v94, v144, v94
	v_fmac_f16_e32 v154, 0x3964, v75
	;; [unrolled: 2-line block ×4, first 2 shown]
	v_add_f16_e32 v16, v26, v16
	v_fma_f16 v26, v57, 0x3722, -v128
	v_add_f16_e32 v22, v131, v22
	v_fmac_f16_e32 v120, 0x3722, v56
	v_add_f16_e32 v11, v18, v11
	v_fmac_f16_e32 v17, 0xbacd, v56
	v_fmamk_f16 v185, v72, 0x2de8, v163
	v_add_f16_e32 v84, v176, v84
	v_mul_u32_u24_sdwa v4, v4, v19 dst_sel:DWORD dst_unused:UNUSED_PAD src0_sel:WORD_0 src1_sel:DWORD
	v_lshlrev_b32_sdwa v18, v21, v20 dst_sel:DWORD dst_unused:UNUSED_PAD src0_sel:DWORD src1_sel:BYTE_0
	v_add_f16_e32 v100, v132, v100
	v_add_f16_e32 v37, v37, v45
	;; [unrolled: 1-line block ×6, first 2 shown]
	v_fmac_f16_e32 v122, 0xbacd, v72
	v_add_f16_e32 v23, v26, v23
	v_fma_f16 v26, v73, 0x3b76, -v130
	v_add_f16_e32 v22, v120, v22
	v_fmac_f16_e32 v60, 0x3b76, v72
	v_fma_f16 v24, v73, 0xbbdd, -v31
	v_add_f16_e32 v11, v17, v11
	v_fmac_f16_e32 v30, 0xbbdd, v72
	v_add_f16_e32 v84, v184, v84
	v_add_f16_e32 v86, v185, v86
	v_add3_u32 v4, 0, v4, v18
	v_pack_b32_f16 v12, v12, v13
	v_pack_b32_f16 v13, v15, v29
	;; [unrolled: 1-line block ×4, first 2 shown]
	v_add_f16_e32 v76, v177, v76
	v_pack_b32_f16 v18, v95, v94
	v_pack_b32_f16 v20, v97, v96
	v_add_f16_e32 v25, v122, v25
	v_add_f16_e32 v23, v26, v23
	;; [unrolled: 1-line block ×3, first 2 shown]
	v_pack_b32_f16 v21, v93, v98
	v_pack_b32_f16 v22, v92, v91
	v_add_f16_e32 v14, v24, v14
	v_add_f16_e32 v11, v30, v11
	ds_write2_b32 v4, v12, v13 offset1:3
	ds_write2_b32 v4, v15, v17 offset0:6 offset1:9
	ds_write2_b32 v4, v18, v20 offset0:12 offset1:15
	;; [unrolled: 1-line block ×3, first 2 shown]
	v_pack_b32_f16 v12, v89, v88
	v_pack_b32_f16 v13, v86, v84
	;; [unrolled: 1-line block ×9, first 2 shown]
	ds_write2_b32 v4, v12, v13 offset0:24 offset1:27
	ds_write2_b32 v4, v15, v17 offset0:30 offset1:33
	;; [unrolled: 1-line block ×4, first 2 shown]
	ds_write_b32 v4, v11 offset:192
.LBB0_25:
	s_or_b32 exec_lo, exec_lo, s1
	v_mul_u32_u24_e32 v4, 6, v3
	s_waitcnt lgkmcnt(0)
	s_barrier
	buffer_gl0_inv
	v_add_nc_u32_e32 v12, 0x600, v0
	v_lshlrev_b32_e32 v4, 2, v4
	v_add_nc_u32_e32 v11, 0x800, v0
	v_add_co_u32 v9, s0, s12, v9
	v_add_co_ci_u32_e64 v10, s0, s13, v10, s0
	s_clause 0x1
	global_load_dwordx4 v[13:16], v4, s[12:13] offset:192
	global_load_dwordx2 v[17:18], v4, s[12:13] offset:208
	v_add_nc_u32_e32 v4, 0x400, v0
	ds_read2_b32 v[19:20], v0 offset1:51
	ds_read2_b32 v[21:22], v0 offset0:102 offset1:153
	ds_read2_b32 v[23:24], v0 offset0:204 offset1:255
	;; [unrolled: 1-line block ×6, first 2 shown]
	v_add_co_u32 v7, s0, s12, v7
	v_add_co_ci_u32_e64 v8, s0, s13, v8, s0
	v_add_co_u32 v33, s0, 0x800, v9
	v_add_co_ci_u32_e64 v34, s0, 0, v10, s0
	s_waitcnt vmcnt(0) lgkmcnt(0)
	s_barrier
	buffer_gl0_inv
	v_lshrrev_b32_e32 v38, 16, v23
	v_lshrrev_b32_e32 v36, 16, v24
	;; [unrolled: 1-line block ×12, first 2 shown]
	v_mul_f16_sdwa v47, v13, v37 dst_sel:DWORD dst_unused:UNUSED_PAD src0_sel:WORD_1 src1_sel:DWORD
	v_mul_f16_sdwa v48, v13, v21 dst_sel:DWORD dst_unused:UNUSED_PAD src0_sel:WORD_1 src1_sel:DWORD
	;; [unrolled: 1-line block ×4, first 2 shown]
	v_mul_f16_sdwa v55, v39, v17 dst_sel:DWORD dst_unused:UNUSED_PAD src0_sel:DWORD src1_sel:WORD_1
	v_mul_f16_sdwa v56, v29, v17 dst_sel:DWORD dst_unused:UNUSED_PAD src0_sel:DWORD src1_sel:WORD_1
	;; [unrolled: 1-line block ×4, first 2 shown]
	v_mul_f16_sdwa v51, v15, v45 dst_sel:DWORD dst_unused:UNUSED_PAD src0_sel:WORD_1 src1_sel:DWORD
	v_mul_f16_sdwa v52, v15, v25 dst_sel:DWORD dst_unused:UNUSED_PAD src0_sel:WORD_1 src1_sel:DWORD
	v_mul_f16_sdwa v53, v16, v46 dst_sel:DWORD dst_unused:UNUSED_PAD src0_sel:WORD_1 src1_sel:DWORD
	v_mul_f16_sdwa v54, v16, v27 dst_sel:DWORD dst_unused:UNUSED_PAD src0_sel:WORD_1 src1_sel:DWORD
	v_mul_f16_sdwa v59, v35, v13 dst_sel:DWORD dst_unused:UNUSED_PAD src0_sel:DWORD src1_sel:WORD_1
	v_mul_f16_sdwa v60, v22, v13 dst_sel:DWORD dst_unused:UNUSED_PAD src0_sel:DWORD src1_sel:WORD_1
	;; [unrolled: 1-line block ×12, first 2 shown]
	v_fma_f16 v21, v13, v21, -v47
	v_fmac_f16_e32 v48, v13, v37
	v_fma_f16 v23, v14, v23, -v49
	v_fmac_f16_e32 v50, v14, v38
	;; [unrolled: 2-line block ×12, first 2 shown]
	v_add_f16_e32 v18, v21, v31
	v_add_f16_e32 v24, v48, v58
	;; [unrolled: 1-line block ×4, first 2 shown]
	v_sub_f16_e32 v21, v21, v31
	v_sub_f16_e32 v26, v48, v58
	;; [unrolled: 1-line block ×4, first 2 shown]
	v_add_f16_e32 v31, v25, v27
	v_add_f16_e32 v32, v52, v54
	v_sub_f16_e32 v25, v27, v25
	v_sub_f16_e32 v27, v54, v52
	v_add_f16_e32 v35, v22, v17
	v_add_f16_e32 v36, v60, v70
	;; [unrolled: 1-line block ×4, first 2 shown]
	v_sub_f16_e32 v17, v22, v17
	v_sub_f16_e32 v22, v60, v70
	;; [unrolled: 1-line block ×4, first 2 shown]
	v_add_f16_e32 v39, v14, v15
	v_sub_f16_e32 v14, v15, v14
	v_sub_f16_e32 v15, v66, v64
	v_add_f16_e32 v41, v28, v18
	v_add_f16_e32 v42, v30, v24
	;; [unrolled: 1-line block ×3, first 2 shown]
	v_sub_f16_e32 v43, v28, v18
	v_sub_f16_e32 v44, v30, v24
	;; [unrolled: 1-line block ×6, first 2 shown]
	v_add_f16_e32 v45, v25, v23
	v_add_f16_e32 v46, v27, v29
	v_sub_f16_e32 v47, v25, v23
	v_sub_f16_e32 v48, v27, v29
	;; [unrolled: 1-line block ×4, first 2 shown]
	v_add_f16_e32 v49, v37, v35
	v_add_f16_e32 v50, v38, v36
	v_sub_f16_e32 v51, v37, v35
	v_sub_f16_e32 v37, v39, v37
	v_add_f16_e32 v53, v14, v13
	v_add_f16_e32 v54, v15, v16
	v_sub_f16_e32 v55, v14, v13
	v_sub_f16_e32 v56, v15, v16
	;; [unrolled: 1-line block ×4, first 2 shown]
	v_add_f16_e32 v31, v31, v41
	v_add_f16_e32 v32, v32, v42
	v_sub_f16_e32 v25, v21, v25
	v_sub_f16_e32 v27, v26, v27
	;; [unrolled: 1-line block ×6, first 2 shown]
	v_add_f16_e32 v21, v45, v21
	v_add_f16_e32 v26, v46, v26
	v_mul_f16_e32 v18, 0x3a52, v18
	v_mul_f16_e32 v24, 0x3a52, v24
	;; [unrolled: 1-line block ×8, first 2 shown]
	v_add_f16_e32 v39, v39, v49
	v_add_f16_e32 v40, v40, v50
	v_sub_f16_e32 v14, v17, v14
	v_sub_f16_e32 v15, v22, v15
	v_add_f16_e32 v17, v53, v17
	v_add_f16_e32 v22, v54, v22
	v_mul_f16_e32 v49, 0x2b26, v37
	v_mul_f16_e32 v53, 0xb846, v55
	;; [unrolled: 1-line block ×5, first 2 shown]
	v_add_f16_e32 v57, v31, v19
	v_add_f16_sdwa v19, v32, v19 dst_sel:DWORD dst_unused:UNUSED_PAD src0_sel:DWORD src1_sel:WORD_1
	v_mul_f16_e32 v35, 0x3a52, v35
	v_mul_f16_e32 v36, 0x3a52, v36
	;; [unrolled: 1-line block ×3, first 2 shown]
	v_fmamk_f16 v28, v28, 0x2b26, v18
	v_fmamk_f16 v30, v30, 0x2b26, v24
	v_fma_f16 v41, v43, 0x39e0, -v41
	v_fma_f16 v42, v44, 0x39e0, -v42
	;; [unrolled: 1-line block ×4, first 2 shown]
	v_fmamk_f16 v43, v25, 0x3574, v45
	v_fmamk_f16 v44, v27, 0x3574, v46
	v_fma_f16 v23, v23, 0x3b00, -v45
	v_fma_f16 v29, v29, 0x3b00, -v46
	;; [unrolled: 1-line block ×4, first 2 shown]
	v_add_f16_e32 v45, v39, v20
	v_add_f16_sdwa v20, v40, v20 dst_sel:DWORD dst_unused:UNUSED_PAD src0_sel:DWORD src1_sel:WORD_1
	v_fma_f16 v46, v51, 0x39e0, -v49
	v_fmamk_f16 v48, v14, 0x3574, v53
	v_fmamk_f16 v49, v15, 0x3574, v54
	v_fma_f16 v13, v13, 0x3b00, -v53
	v_fma_f16 v16, v16, 0x3b00, -v54
	v_fma_f16 v14, v14, 0xb574, -v55
	v_fma_f16 v15, v15, 0xb574, -v56
	v_fmamk_f16 v31, v31, 0xbcab, v57
	v_fmamk_f16 v32, v32, 0xbcab, v19
	;; [unrolled: 1-line block ×4, first 2 shown]
	v_fma_f16 v47, v52, 0x39e0, -v50
	v_fma_f16 v35, v51, 0xb9e0, -v35
	v_fma_f16 v36, v52, 0xb9e0, -v36
	v_fmac_f16_e32 v43, 0x370e, v21
	v_fmac_f16_e32 v44, 0x370e, v26
	;; [unrolled: 1-line block ×6, first 2 shown]
	v_fmamk_f16 v21, v39, 0xbcab, v45
	v_fmamk_f16 v26, v40, 0xbcab, v20
	v_fmac_f16_e32 v48, 0x370e, v17
	v_fmac_f16_e32 v49, 0x370e, v22
	;; [unrolled: 1-line block ×6, first 2 shown]
	v_pack_b32_f16 v17, v57, v19
	v_pack_b32_f16 v19, v45, v20
	v_add_f16_e32 v20, v28, v31
	v_add_f16_e32 v22, v30, v32
	;; [unrolled: 1-line block ×13, first 2 shown]
	v_sub_f16_e32 v36, v22, v43
	v_add_f16_e32 v39, v27, v18
	v_sub_f16_e32 v40, v24, v25
	v_sub_f16_e32 v41, v28, v29
	v_add_f16_e32 v42, v23, v30
	v_add_f16_e32 v28, v29, v28
	v_sub_f16_e32 v23, v30, v23
	v_sub_f16_e32 v18, v18, v27
	v_add_f16_e32 v24, v25, v24
	v_sub_f16_e32 v20, v20, v44
	v_add_f16_e32 v22, v43, v22
	v_add_f16_e32 v25, v49, v31
	v_sub_f16_e32 v27, v32, v48
	v_add_f16_e32 v29, v15, v21
	v_sub_f16_e32 v30, v26, v14
	v_sub_f16_e32 v43, v37, v16
	v_add_f16_e32 v44, v13, v38
	v_add_f16_e32 v16, v16, v37
	v_sub_f16_e32 v13, v38, v13
	v_sub_f16_e32 v15, v21, v15
	v_add_f16_e32 v14, v14, v26
	v_sub_f16_e32 v21, v31, v49
	v_add_f16_e32 v26, v48, v32
	v_pack_b32_f16 v31, v35, v36
	v_pack_b32_f16 v32, v39, v40
	;; [unrolled: 1-line block ×12, first 2 shown]
	ds_write2_b32 v0, v17, v31 offset1:51
	ds_write2_b32 v0, v32, v35 offset0:102 offset1:153
	ds_write2_b32 v0, v23, v18 offset0:204 offset1:255
	;; [unrolled: 1-line block ×6, first 2 shown]
	s_waitcnt lgkmcnt(0)
	s_barrier
	buffer_gl0_inv
	s_clause 0x6
	global_load_dword v23, v[33:34], off offset:592
	global_load_dword v24, v[7:8], off offset:1416
	;; [unrolled: 1-line block ×7, first 2 shown]
	ds_read2_b32 v[7:8], v4 offset0:50 offset1:101
	ds_read2_b32 v[9:10], v4 offset0:152 offset1:203
	;; [unrolled: 1-line block ×3, first 2 shown]
	ds_read_u16 v30, v0 offset:2246
	ds_read2_b32 v[15:16], v11 offset0:100 offset1:151
	ds_read2_b32 v[17:18], v0 offset1:51
	ds_read2_b32 v[19:20], v0 offset0:102 offset1:153
	ds_read2_b32 v[21:22], v0 offset0:204 offset1:255
	s_waitcnt vmcnt(0) lgkmcnt(0)
	s_barrier
	buffer_gl0_inv
	v_pk_mul_f16 v36, v16, v23 op_sel:[0,1]
	v_pk_mul_f16 v31, v24, v8 op_sel:[0,1]
	v_pk_mul_f16 v32, v25, v9 op_sel:[0,1]
	v_pk_mul_f16 v33, v26, v10 op_sel:[0,1]
	v_pk_mul_f16 v34, v27, v13 op_sel:[0,1]
	v_pk_mul_f16 v30, v30, v28 op_sel_hi:[0,1]
	v_pk_mul_f16 v35, v15, v29 op_sel:[0,1]
	v_pk_fma_f16 v37, v24, v8, v31 op_sel:[0,0,1] op_sel_hi:[1,1,0] neg_lo:[0,0,1] neg_hi:[0,0,1]
	v_pk_fma_f16 v8, v24, v8, v31 op_sel:[0,0,1] op_sel_hi:[1,0,0]
	v_pk_fma_f16 v24, v25, v9, v32 op_sel:[0,0,1] op_sel_hi:[1,1,0] neg_lo:[0,0,1] neg_hi:[0,0,1]
	v_pk_fma_f16 v9, v25, v9, v32 op_sel:[0,0,1] op_sel_hi:[1,0,0]
	v_pk_fma_f16 v25, v26, v10, v33 op_sel:[0,0,1] op_sel_hi:[1,1,0] neg_lo:[0,0,1] neg_hi:[0,0,1]
	v_pk_fma_f16 v10, v26, v10, v33 op_sel:[0,0,1] op_sel_hi:[1,0,0]
	v_pk_fma_f16 v26, v27, v13, v34 op_sel:[0,0,1] op_sel_hi:[1,1,0] neg_lo:[0,0,1] neg_hi:[0,0,1]
	v_pk_fma_f16 v13, v27, v13, v34 op_sel:[0,0,1] op_sel_hi:[1,0,0]
	v_pk_fma_f16 v27, v28, v14, v30 op_sel:[0,0,1] op_sel_hi:[1,1,0] neg_lo:[0,0,1] neg_hi:[0,0,1]
	v_pk_fma_f16 v14, v28, v14, v30 op_sel:[0,0,1] op_sel_hi:[1,0,0]
	v_pk_fma_f16 v28, v15, v29, v35 op_sel:[0,0,1] op_sel_hi:[1,1,0] neg_lo:[0,0,1] neg_hi:[0,0,1]
	v_pk_fma_f16 v15, v15, v29, v35 op_sel:[0,0,1] op_sel_hi:[1,0,0]
	v_pk_fma_f16 v29, v16, v23, v36 op_sel:[0,0,1] op_sel_hi:[1,1,0] neg_lo:[0,0,1] neg_hi:[0,0,1]
	v_pk_fma_f16 v16, v16, v23, v36 op_sel:[0,0,1] op_sel_hi:[1,0,0]
	v_bfi_b32 v8, 0xffff, v37, v8
	v_bfi_b32 v9, 0xffff, v24, v9
	;; [unrolled: 1-line block ×7, first 2 shown]
	v_pk_add_f16 v8, v17, v8 neg_lo:[0,1] neg_hi:[0,1]
	v_pk_add_f16 v9, v18, v9 neg_lo:[0,1] neg_hi:[0,1]
	;; [unrolled: 1-line block ×7, first 2 shown]
	v_pk_fma_f16 v17, v17, 2.0, v8 op_sel_hi:[1,0,1] neg_lo:[0,0,1] neg_hi:[0,0,1]
	v_pk_fma_f16 v18, v18, 2.0, v9 op_sel_hi:[1,0,1] neg_lo:[0,0,1] neg_hi:[0,0,1]
	v_pk_fma_f16 v19, v19, 2.0, v10 op_sel_hi:[1,0,1] neg_lo:[0,0,1] neg_hi:[0,0,1]
	v_pk_fma_f16 v20, v20, 2.0, v13 op_sel_hi:[1,0,1] neg_lo:[0,0,1] neg_hi:[0,0,1]
	v_pk_fma_f16 v21, v21, 2.0, v14 op_sel_hi:[1,0,1] neg_lo:[0,0,1] neg_hi:[0,0,1]
	v_pk_fma_f16 v22, v22, 2.0, v15 op_sel_hi:[1,0,1] neg_lo:[0,0,1] neg_hi:[0,0,1]
	v_pk_fma_f16 v7, v7, 2.0, v16 op_sel_hi:[1,0,1] neg_lo:[0,0,1] neg_hi:[0,0,1]
	ds_write2_b32 v4, v9, v10 offset0:152 offset1:203
	ds_write2_b32 v12, v13, v14 offset0:126 offset1:177
	;; [unrolled: 1-line block ×3, first 2 shown]
	ds_write2_b32 v0, v17, v18 offset1:51
	ds_write2_b32 v0, v19, v20 offset0:102 offset1:153
	ds_write2_b32 v0, v21, v22 offset0:204 offset1:255
	;; [unrolled: 1-line block ×3, first 2 shown]
	s_waitcnt lgkmcnt(0)
	s_barrier
	buffer_gl0_inv
	s_and_saveexec_b32 s0, vcc_lo
	s_cbranch_execz .LBB0_27
; %bb.26:
	v_mul_lo_u32 v0, s3, v5
	v_mul_lo_u32 v7, s2, v6
	v_mad_u64_u32 v[5:6], null, s2, v5, 0
	v_lshl_add_u32 v19, v3, 2, 0
	v_mov_b32_e32 v4, 0
	v_add_nc_u32_e32 v9, 0x66, v3
	v_add_nc_u32_e32 v11, 0x99, v3
	;; [unrolled: 1-line block ×3, first 2 shown]
	ds_read2_b32 v[13:14], v19 offset1:51
	v_add3_u32 v6, v6, v7, v0
	v_lshlrev_b64 v[0:1], 2, v[1:2]
	v_lshlrev_b64 v[15:16], 2, v[3:4]
	v_add_nc_u32_e32 v7, 51, v3
	v_mov_b32_e32 v8, v4
	v_lshlrev_b64 v[5:6], 2, v[5:6]
	v_mov_b32_e32 v10, v4
	v_mov_b32_e32 v12, v4
	;; [unrolled: 1-line block ×3, first 2 shown]
	v_add_co_u32 v2, vcc_lo, s10, v5
	v_add_co_ci_u32_e32 v5, vcc_lo, s11, v6, vcc_lo
	v_add_co_u32 v20, vcc_lo, v2, v0
	v_add_co_ci_u32_e32 v21, vcc_lo, v5, v1, vcc_lo
	v_lshlrev_b64 v[0:1], 2, v[7:8]
	v_add_co_u32 v5, vcc_lo, v20, v15
	v_add_co_ci_u32_e32 v6, vcc_lo, v21, v16, vcc_lo
	ds_read2_b32 v[15:16], v19 offset0:204 offset1:255
	v_lshlrev_b64 v[7:8], 2, v[9:10]
	v_lshlrev_b64 v[9:10], 2, v[11:12]
	s_waitcnt lgkmcnt(1)
	global_store_dword v[5:6], v13, off
	ds_read2_b32 v[5:6], v19 offset0:102 offset1:153
	v_add_nc_u32_e32 v11, 0xcc, v3
	v_add_co_u32 v0, vcc_lo, v20, v0
	v_add_co_ci_u32_e32 v1, vcc_lo, v21, v1, vcc_lo
	v_add_co_u32 v7, vcc_lo, v20, v7
	v_lshlrev_b64 v[11:12], 2, v[11:12]
	v_add_co_ci_u32_e32 v8, vcc_lo, v21, v8, vcc_lo
	v_add_co_u32 v9, vcc_lo, v20, v9
	v_add_co_ci_u32_e32 v10, vcc_lo, v21, v10, vcc_lo
	v_add_co_u32 v11, vcc_lo, v20, v11
	v_add_nc_u32_e32 v2, 0x400, v19
	v_add_co_ci_u32_e32 v12, vcc_lo, v21, v12, vcc_lo
	global_store_dword v[0:1], v14, off
	s_waitcnt lgkmcnt(0)
	global_store_dword v[7:8], v5, off
	global_store_dword v[9:10], v6, off
	;; [unrolled: 1-line block ×3, first 2 shown]
	v_add_nc_u32_e32 v5, 0x132, v3
	v_mov_b32_e32 v6, v4
	v_lshlrev_b64 v[0:1], 2, v[17:18]
	ds_read2_b32 v[9:10], v2 offset0:50 offset1:101
	v_add_nc_u32_e32 v7, 0x165, v3
	v_mov_b32_e32 v8, v4
	ds_read2_b32 v[13:14], v2 offset0:152 offset1:203
	v_lshlrev_b64 v[5:6], 2, v[5:6]
	v_add_nc_u32_e32 v11, 0x198, v3
	v_mov_b32_e32 v12, v4
	v_add_co_u32 v0, vcc_lo, v20, v0
	v_lshlrev_b64 v[7:8], 2, v[7:8]
	v_add_co_ci_u32_e32 v1, vcc_lo, v21, v1, vcc_lo
	v_add_co_u32 v5, vcc_lo, v20, v5
	v_lshlrev_b64 v[11:12], 2, v[11:12]
	v_add_co_ci_u32_e32 v6, vcc_lo, v21, v6, vcc_lo
	v_add_co_u32 v7, vcc_lo, v20, v7
	v_add_co_ci_u32_e32 v8, vcc_lo, v21, v8, vcc_lo
	v_add_co_u32 v11, vcc_lo, v20, v11
	v_add_nc_u32_e32 v2, 0x600, v19
	v_add_nc_u32_e32 v17, 0x1cb, v3
	v_add_co_ci_u32_e32 v12, vcc_lo, v21, v12, vcc_lo
	global_store_dword v[0:1], v16, off
	s_waitcnt lgkmcnt(1)
	global_store_dword v[5:6], v9, off
	global_store_dword v[7:8], v10, off
	s_waitcnt lgkmcnt(0)
	global_store_dword v[11:12], v13, off
	v_add_nc_u32_e32 v5, 0x1fe, v3
	v_mov_b32_e32 v6, v4
	ds_read2_b32 v[9:10], v2 offset0:126 offset1:177
	v_add_nc_u32_e32 v2, 0x800, v19
	v_lshlrev_b64 v[0:1], 2, v[17:18]
	v_add_nc_u32_e32 v7, 0x231, v3
	v_mov_b32_e32 v8, v4
	v_lshlrev_b64 v[5:6], 2, v[5:6]
	v_add_nc_u32_e32 v11, 0x264, v3
	v_mov_b32_e32 v12, v4
	ds_read2_b32 v[15:16], v2 offset0:100 offset1:151
	v_add_co_u32 v0, vcc_lo, v20, v0
	v_lshlrev_b64 v[7:8], 2, v[7:8]
	v_add_nc_u32_e32 v3, 0x297, v3
	v_add_co_ci_u32_e32 v1, vcc_lo, v21, v1, vcc_lo
	v_add_co_u32 v5, vcc_lo, v20, v5
	v_lshlrev_b64 v[11:12], 2, v[11:12]
	v_add_co_ci_u32_e32 v6, vcc_lo, v21, v6, vcc_lo
	v_add_co_u32 v7, vcc_lo, v20, v7
	v_lshlrev_b64 v[2:3], 2, v[3:4]
	v_add_co_ci_u32_e32 v8, vcc_lo, v21, v8, vcc_lo
	v_add_co_u32 v11, vcc_lo, v20, v11
	v_add_co_ci_u32_e32 v12, vcc_lo, v21, v12, vcc_lo
	v_add_co_u32 v2, vcc_lo, v20, v2
	v_add_co_ci_u32_e32 v3, vcc_lo, v21, v3, vcc_lo
	global_store_dword v[0:1], v14, off
	s_waitcnt lgkmcnt(1)
	global_store_dword v[5:6], v9, off
	global_store_dword v[7:8], v10, off
	s_waitcnt lgkmcnt(0)
	global_store_dword v[11:12], v15, off
	global_store_dword v[2:3], v16, off
.LBB0_27:
	s_endpgm
	.section	.rodata,"a",@progbits
	.p2align	6, 0x0
	.amdhsa_kernel fft_rtc_fwd_len714_factors_3_17_7_2_wgs_51_tpt_51_halfLds_half_op_CI_CI_unitstride_sbrr_C2R_dirReg
		.amdhsa_group_segment_fixed_size 0
		.amdhsa_private_segment_fixed_size 0
		.amdhsa_kernarg_size 104
		.amdhsa_user_sgpr_count 6
		.amdhsa_user_sgpr_private_segment_buffer 1
		.amdhsa_user_sgpr_dispatch_ptr 0
		.amdhsa_user_sgpr_queue_ptr 0
		.amdhsa_user_sgpr_kernarg_segment_ptr 1
		.amdhsa_user_sgpr_dispatch_id 0
		.amdhsa_user_sgpr_flat_scratch_init 0
		.amdhsa_user_sgpr_private_segment_size 0
		.amdhsa_wavefront_size32 1
		.amdhsa_uses_dynamic_stack 0
		.amdhsa_system_sgpr_private_segment_wavefront_offset 0
		.amdhsa_system_sgpr_workgroup_id_x 1
		.amdhsa_system_sgpr_workgroup_id_y 0
		.amdhsa_system_sgpr_workgroup_id_z 0
		.amdhsa_system_sgpr_workgroup_info 0
		.amdhsa_system_vgpr_workitem_id 0
		.amdhsa_next_free_vgpr 208
		.amdhsa_next_free_sgpr 27
		.amdhsa_reserve_vcc 1
		.amdhsa_reserve_flat_scratch 0
		.amdhsa_float_round_mode_32 0
		.amdhsa_float_round_mode_16_64 0
		.amdhsa_float_denorm_mode_32 3
		.amdhsa_float_denorm_mode_16_64 3
		.amdhsa_dx10_clamp 1
		.amdhsa_ieee_mode 1
		.amdhsa_fp16_overflow 0
		.amdhsa_workgroup_processor_mode 1
		.amdhsa_memory_ordered 1
		.amdhsa_forward_progress 0
		.amdhsa_shared_vgpr_count 0
		.amdhsa_exception_fp_ieee_invalid_op 0
		.amdhsa_exception_fp_denorm_src 0
		.amdhsa_exception_fp_ieee_div_zero 0
		.amdhsa_exception_fp_ieee_overflow 0
		.amdhsa_exception_fp_ieee_underflow 0
		.amdhsa_exception_fp_ieee_inexact 0
		.amdhsa_exception_int_div_zero 0
	.end_amdhsa_kernel
	.text
.Lfunc_end0:
	.size	fft_rtc_fwd_len714_factors_3_17_7_2_wgs_51_tpt_51_halfLds_half_op_CI_CI_unitstride_sbrr_C2R_dirReg, .Lfunc_end0-fft_rtc_fwd_len714_factors_3_17_7_2_wgs_51_tpt_51_halfLds_half_op_CI_CI_unitstride_sbrr_C2R_dirReg
                                        ; -- End function
	.section	.AMDGPU.csdata,"",@progbits
; Kernel info:
; codeLenInByte = 12480
; NumSgprs: 29
; NumVgprs: 208
; ScratchSize: 0
; MemoryBound: 0
; FloatMode: 240
; IeeeMode: 1
; LDSByteSize: 0 bytes/workgroup (compile time only)
; SGPRBlocks: 3
; VGPRBlocks: 25
; NumSGPRsForWavesPerEU: 29
; NumVGPRsForWavesPerEU: 208
; Occupancy: 4
; WaveLimiterHint : 1
; COMPUTE_PGM_RSRC2:SCRATCH_EN: 0
; COMPUTE_PGM_RSRC2:USER_SGPR: 6
; COMPUTE_PGM_RSRC2:TRAP_HANDLER: 0
; COMPUTE_PGM_RSRC2:TGID_X_EN: 1
; COMPUTE_PGM_RSRC2:TGID_Y_EN: 0
; COMPUTE_PGM_RSRC2:TGID_Z_EN: 0
; COMPUTE_PGM_RSRC2:TIDIG_COMP_CNT: 0
	.text
	.p2alignl 6, 3214868480
	.fill 48, 4, 3214868480
	.type	__hip_cuid_aef09f7696faa5d0,@object ; @__hip_cuid_aef09f7696faa5d0
	.section	.bss,"aw",@nobits
	.globl	__hip_cuid_aef09f7696faa5d0
__hip_cuid_aef09f7696faa5d0:
	.byte	0                               ; 0x0
	.size	__hip_cuid_aef09f7696faa5d0, 1

	.ident	"AMD clang version 19.0.0git (https://github.com/RadeonOpenCompute/llvm-project roc-6.4.0 25133 c7fe45cf4b819c5991fe208aaa96edf142730f1d)"
	.section	".note.GNU-stack","",@progbits
	.addrsig
	.addrsig_sym __hip_cuid_aef09f7696faa5d0
	.amdgpu_metadata
---
amdhsa.kernels:
  - .args:
      - .actual_access:  read_only
        .address_space:  global
        .offset:         0
        .size:           8
        .value_kind:     global_buffer
      - .offset:         8
        .size:           8
        .value_kind:     by_value
      - .actual_access:  read_only
        .address_space:  global
        .offset:         16
        .size:           8
        .value_kind:     global_buffer
      - .actual_access:  read_only
        .address_space:  global
        .offset:         24
        .size:           8
        .value_kind:     global_buffer
      - .actual_access:  read_only
        .address_space:  global
        .offset:         32
        .size:           8
        .value_kind:     global_buffer
      - .offset:         40
        .size:           8
        .value_kind:     by_value
      - .actual_access:  read_only
        .address_space:  global
        .offset:         48
        .size:           8
        .value_kind:     global_buffer
      - .actual_access:  read_only
        .address_space:  global
        .offset:         56
        .size:           8
        .value_kind:     global_buffer
      - .offset:         64
        .size:           4
        .value_kind:     by_value
      - .actual_access:  read_only
        .address_space:  global
        .offset:         72
        .size:           8
        .value_kind:     global_buffer
      - .actual_access:  read_only
        .address_space:  global
        .offset:         80
        .size:           8
        .value_kind:     global_buffer
      - .actual_access:  read_only
        .address_space:  global
        .offset:         88
        .size:           8
        .value_kind:     global_buffer
      - .actual_access:  write_only
        .address_space:  global
        .offset:         96
        .size:           8
        .value_kind:     global_buffer
    .group_segment_fixed_size: 0
    .kernarg_segment_align: 8
    .kernarg_segment_size: 104
    .language:       OpenCL C
    .language_version:
      - 2
      - 0
    .max_flat_workgroup_size: 51
    .name:           fft_rtc_fwd_len714_factors_3_17_7_2_wgs_51_tpt_51_halfLds_half_op_CI_CI_unitstride_sbrr_C2R_dirReg
    .private_segment_fixed_size: 0
    .sgpr_count:     29
    .sgpr_spill_count: 0
    .symbol:         fft_rtc_fwd_len714_factors_3_17_7_2_wgs_51_tpt_51_halfLds_half_op_CI_CI_unitstride_sbrr_C2R_dirReg.kd
    .uniform_work_group_size: 1
    .uses_dynamic_stack: false
    .vgpr_count:     208
    .vgpr_spill_count: 0
    .wavefront_size: 32
    .workgroup_processor_mode: 1
amdhsa.target:   amdgcn-amd-amdhsa--gfx1030
amdhsa.version:
  - 1
  - 2
...

	.end_amdgpu_metadata
